;; amdgpu-corpus repo=ROCm/rocFFT kind=compiled arch=gfx1201 opt=O3
	.text
	.amdgcn_target "amdgcn-amd-amdhsa--gfx1201"
	.amdhsa_code_object_version 6
	.protected	fft_rtc_fwd_len2700_factors_3_10_10_3_3_wgs_90_tpt_90_halfLds_dp_op_CI_CI_unitstride_sbrr_C2R_dirReg ; -- Begin function fft_rtc_fwd_len2700_factors_3_10_10_3_3_wgs_90_tpt_90_halfLds_dp_op_CI_CI_unitstride_sbrr_C2R_dirReg
	.globl	fft_rtc_fwd_len2700_factors_3_10_10_3_3_wgs_90_tpt_90_halfLds_dp_op_CI_CI_unitstride_sbrr_C2R_dirReg
	.p2align	8
	.type	fft_rtc_fwd_len2700_factors_3_10_10_3_3_wgs_90_tpt_90_halfLds_dp_op_CI_CI_unitstride_sbrr_C2R_dirReg,@function
fft_rtc_fwd_len2700_factors_3_10_10_3_3_wgs_90_tpt_90_halfLds_dp_op_CI_CI_unitstride_sbrr_C2R_dirReg: ; @fft_rtc_fwd_len2700_factors_3_10_10_3_3_wgs_90_tpt_90_halfLds_dp_op_CI_CI_unitstride_sbrr_C2R_dirReg
; %bb.0:
	s_clause 0x2
	s_load_b128 s[8:11], s[0:1], 0x0
	s_load_b128 s[4:7], s[0:1], 0x58
	;; [unrolled: 1-line block ×3, first 2 shown]
	v_mul_u32_u24_e32 v1, 0x2d9, v0
	v_mov_b32_e32 v3, 0
	s_delay_alu instid0(VALU_DEP_2) | instskip(NEXT) | instid1(VALU_DEP_1)
	v_lshrrev_b32_e32 v1, 16, v1
	v_add_nc_u32_e32 v5, ttmp9, v1
	v_mov_b32_e32 v1, 0
	v_mov_b32_e32 v2, 0
	;; [unrolled: 1-line block ×3, first 2 shown]
	s_wait_kmcnt 0x0
	v_cmp_lt_u64_e64 s2, s[10:11], 2
	s_delay_alu instid0(VALU_DEP_1)
	s_and_b32 vcc_lo, exec_lo, s2
	s_cbranch_vccnz .LBB0_8
; %bb.1:
	s_load_b64 s[2:3], s[0:1], 0x10
	v_mov_b32_e32 v1, 0
	v_mov_b32_e32 v2, 0
	s_add_nc_u64 s[16:17], s[14:15], 8
	s_add_nc_u64 s[18:19], s[12:13], 8
	s_mov_b64 s[20:21], 1
	s_delay_alu instid0(VALU_DEP_1)
	v_dual_mov_b32 v155, v2 :: v_dual_mov_b32 v154, v1
	s_wait_kmcnt 0x0
	s_add_nc_u64 s[22:23], s[2:3], 8
	s_mov_b32 s3, 0
.LBB0_2:                                ; =>This Inner Loop Header: Depth=1
	s_load_b64 s[24:25], s[22:23], 0x0
                                        ; implicit-def: $vgpr156_vgpr157
	s_mov_b32 s2, exec_lo
	s_wait_kmcnt 0x0
	v_or_b32_e32 v4, s25, v6
	s_delay_alu instid0(VALU_DEP_1)
	v_cmpx_ne_u64_e32 0, v[3:4]
	s_wait_alu 0xfffe
	s_xor_b32 s26, exec_lo, s2
	s_cbranch_execz .LBB0_4
; %bb.3:                                ;   in Loop: Header=BB0_2 Depth=1
	s_cvt_f32_u32 s2, s24
	s_cvt_f32_u32 s27, s25
	s_sub_nc_u64 s[30:31], 0, s[24:25]
	s_wait_alu 0xfffe
	s_delay_alu instid0(SALU_CYCLE_1) | instskip(SKIP_1) | instid1(SALU_CYCLE_2)
	s_fmamk_f32 s2, s27, 0x4f800000, s2
	s_wait_alu 0xfffe
	v_s_rcp_f32 s2, s2
	s_delay_alu instid0(TRANS32_DEP_1) | instskip(SKIP_1) | instid1(SALU_CYCLE_2)
	s_mul_f32 s2, s2, 0x5f7ffffc
	s_wait_alu 0xfffe
	s_mul_f32 s27, s2, 0x2f800000
	s_wait_alu 0xfffe
	s_delay_alu instid0(SALU_CYCLE_2) | instskip(SKIP_1) | instid1(SALU_CYCLE_2)
	s_trunc_f32 s27, s27
	s_wait_alu 0xfffe
	s_fmamk_f32 s2, s27, 0xcf800000, s2
	s_cvt_u32_f32 s29, s27
	s_wait_alu 0xfffe
	s_delay_alu instid0(SALU_CYCLE_1) | instskip(SKIP_1) | instid1(SALU_CYCLE_2)
	s_cvt_u32_f32 s28, s2
	s_wait_alu 0xfffe
	s_mul_u64 s[34:35], s[30:31], s[28:29]
	s_wait_alu 0xfffe
	s_mul_hi_u32 s37, s28, s35
	s_mul_i32 s36, s28, s35
	s_mul_hi_u32 s2, s28, s34
	s_mul_i32 s33, s29, s34
	s_wait_alu 0xfffe
	s_add_nc_u64 s[36:37], s[2:3], s[36:37]
	s_mul_hi_u32 s27, s29, s34
	s_mul_hi_u32 s38, s29, s35
	s_add_co_u32 s2, s36, s33
	s_wait_alu 0xfffe
	s_add_co_ci_u32 s2, s37, s27
	s_mul_i32 s34, s29, s35
	s_add_co_ci_u32 s35, s38, 0
	s_wait_alu 0xfffe
	s_add_nc_u64 s[34:35], s[2:3], s[34:35]
	s_wait_alu 0xfffe
	v_add_co_u32 v4, s2, s28, s34
	s_delay_alu instid0(VALU_DEP_1) | instskip(SKIP_1) | instid1(VALU_DEP_1)
	s_cmp_lg_u32 s2, 0
	s_add_co_ci_u32 s29, s29, s35
	v_readfirstlane_b32 s28, v4
	s_wait_alu 0xfffe
	s_delay_alu instid0(VALU_DEP_1)
	s_mul_u64 s[30:31], s[30:31], s[28:29]
	s_wait_alu 0xfffe
	s_mul_hi_u32 s35, s28, s31
	s_mul_i32 s34, s28, s31
	s_mul_hi_u32 s2, s28, s30
	s_mul_i32 s33, s29, s30
	s_wait_alu 0xfffe
	s_add_nc_u64 s[34:35], s[2:3], s[34:35]
	s_mul_hi_u32 s27, s29, s30
	s_mul_hi_u32 s28, s29, s31
	s_wait_alu 0xfffe
	s_add_co_u32 s2, s34, s33
	s_add_co_ci_u32 s2, s35, s27
	s_mul_i32 s30, s29, s31
	s_add_co_ci_u32 s31, s28, 0
	s_wait_alu 0xfffe
	s_add_nc_u64 s[30:31], s[2:3], s[30:31]
	s_wait_alu 0xfffe
	v_add_co_u32 v4, s2, v4, s30
	s_delay_alu instid0(VALU_DEP_1) | instskip(SKIP_1) | instid1(VALU_DEP_1)
	s_cmp_lg_u32 s2, 0
	s_add_co_ci_u32 s2, s29, s31
	v_mul_hi_u32 v13, v5, v4
	s_wait_alu 0xfffe
	v_mad_co_u64_u32 v[7:8], null, v5, s2, 0
	v_mad_co_u64_u32 v[9:10], null, v6, v4, 0
	;; [unrolled: 1-line block ×3, first 2 shown]
	s_delay_alu instid0(VALU_DEP_3) | instskip(SKIP_1) | instid1(VALU_DEP_4)
	v_add_co_u32 v4, vcc_lo, v13, v7
	s_wait_alu 0xfffd
	v_add_co_ci_u32_e32 v7, vcc_lo, 0, v8, vcc_lo
	s_delay_alu instid0(VALU_DEP_2) | instskip(SKIP_1) | instid1(VALU_DEP_2)
	v_add_co_u32 v4, vcc_lo, v4, v9
	s_wait_alu 0xfffd
	v_add_co_ci_u32_e32 v4, vcc_lo, v7, v10, vcc_lo
	s_wait_alu 0xfffd
	v_add_co_ci_u32_e32 v7, vcc_lo, 0, v12, vcc_lo
	s_delay_alu instid0(VALU_DEP_2) | instskip(SKIP_1) | instid1(VALU_DEP_2)
	v_add_co_u32 v4, vcc_lo, v4, v11
	s_wait_alu 0xfffd
	v_add_co_ci_u32_e32 v9, vcc_lo, 0, v7, vcc_lo
	s_delay_alu instid0(VALU_DEP_2) | instskip(SKIP_1) | instid1(VALU_DEP_3)
	v_mul_lo_u32 v10, s25, v4
	v_mad_co_u64_u32 v[7:8], null, s24, v4, 0
	v_mul_lo_u32 v11, s24, v9
	s_delay_alu instid0(VALU_DEP_2) | instskip(NEXT) | instid1(VALU_DEP_2)
	v_sub_co_u32 v7, vcc_lo, v5, v7
	v_add3_u32 v8, v8, v11, v10
	s_delay_alu instid0(VALU_DEP_1) | instskip(SKIP_1) | instid1(VALU_DEP_1)
	v_sub_nc_u32_e32 v10, v6, v8
	s_wait_alu 0xfffd
	v_subrev_co_ci_u32_e64 v10, s2, s25, v10, vcc_lo
	v_add_co_u32 v11, s2, v4, 2
	s_wait_alu 0xf1ff
	v_add_co_ci_u32_e64 v12, s2, 0, v9, s2
	v_sub_co_u32 v13, s2, v7, s24
	v_sub_co_ci_u32_e32 v8, vcc_lo, v6, v8, vcc_lo
	s_wait_alu 0xf1ff
	v_subrev_co_ci_u32_e64 v10, s2, 0, v10, s2
	s_delay_alu instid0(VALU_DEP_3) | instskip(NEXT) | instid1(VALU_DEP_3)
	v_cmp_le_u32_e32 vcc_lo, s24, v13
	v_cmp_eq_u32_e64 s2, s25, v8
	s_wait_alu 0xfffd
	v_cndmask_b32_e64 v13, 0, -1, vcc_lo
	v_cmp_le_u32_e32 vcc_lo, s25, v10
	s_wait_alu 0xfffd
	v_cndmask_b32_e64 v14, 0, -1, vcc_lo
	v_cmp_le_u32_e32 vcc_lo, s24, v7
	;; [unrolled: 3-line block ×3, first 2 shown]
	s_wait_alu 0xfffd
	v_cndmask_b32_e64 v15, 0, -1, vcc_lo
	v_cmp_eq_u32_e32 vcc_lo, s25, v10
	s_wait_alu 0xf1ff
	s_delay_alu instid0(VALU_DEP_2)
	v_cndmask_b32_e64 v7, v15, v7, s2
	s_wait_alu 0xfffd
	v_cndmask_b32_e32 v10, v14, v13, vcc_lo
	v_add_co_u32 v13, vcc_lo, v4, 1
	s_wait_alu 0xfffd
	v_add_co_ci_u32_e32 v14, vcc_lo, 0, v9, vcc_lo
	s_delay_alu instid0(VALU_DEP_3) | instskip(SKIP_1) | instid1(VALU_DEP_2)
	v_cmp_ne_u32_e32 vcc_lo, 0, v10
	s_wait_alu 0xfffd
	v_cndmask_b32_e32 v8, v14, v12, vcc_lo
	v_cndmask_b32_e32 v10, v13, v11, vcc_lo
	v_cmp_ne_u32_e32 vcc_lo, 0, v7
	s_wait_alu 0xfffd
	s_delay_alu instid0(VALU_DEP_2)
	v_dual_cndmask_b32 v157, v9, v8 :: v_dual_cndmask_b32 v156, v4, v10
.LBB0_4:                                ;   in Loop: Header=BB0_2 Depth=1
	s_wait_alu 0xfffe
	s_and_not1_saveexec_b32 s2, s26
	s_cbranch_execz .LBB0_6
; %bb.5:                                ;   in Loop: Header=BB0_2 Depth=1
	v_cvt_f32_u32_e32 v4, s24
	s_sub_co_i32 s26, 0, s24
	v_mov_b32_e32 v157, v3
	s_delay_alu instid0(VALU_DEP_2) | instskip(NEXT) | instid1(TRANS32_DEP_1)
	v_rcp_iflag_f32_e32 v4, v4
	v_mul_f32_e32 v4, 0x4f7ffffe, v4
	s_delay_alu instid0(VALU_DEP_1) | instskip(SKIP_1) | instid1(VALU_DEP_1)
	v_cvt_u32_f32_e32 v4, v4
	s_wait_alu 0xfffe
	v_mul_lo_u32 v7, s26, v4
	s_delay_alu instid0(VALU_DEP_1) | instskip(NEXT) | instid1(VALU_DEP_1)
	v_mul_hi_u32 v7, v4, v7
	v_add_nc_u32_e32 v4, v4, v7
	s_delay_alu instid0(VALU_DEP_1) | instskip(NEXT) | instid1(VALU_DEP_1)
	v_mul_hi_u32 v4, v5, v4
	v_mul_lo_u32 v7, v4, s24
	v_add_nc_u32_e32 v8, 1, v4
	s_delay_alu instid0(VALU_DEP_2) | instskip(NEXT) | instid1(VALU_DEP_1)
	v_sub_nc_u32_e32 v7, v5, v7
	v_subrev_nc_u32_e32 v9, s24, v7
	v_cmp_le_u32_e32 vcc_lo, s24, v7
	s_wait_alu 0xfffd
	s_delay_alu instid0(VALU_DEP_2) | instskip(NEXT) | instid1(VALU_DEP_1)
	v_dual_cndmask_b32 v7, v7, v9 :: v_dual_cndmask_b32 v4, v4, v8
	v_cmp_le_u32_e32 vcc_lo, s24, v7
	s_delay_alu instid0(VALU_DEP_2) | instskip(SKIP_1) | instid1(VALU_DEP_1)
	v_add_nc_u32_e32 v8, 1, v4
	s_wait_alu 0xfffd
	v_cndmask_b32_e32 v156, v4, v8, vcc_lo
.LBB0_6:                                ;   in Loop: Header=BB0_2 Depth=1
	s_wait_alu 0xfffe
	s_or_b32 exec_lo, exec_lo, s2
	v_mul_lo_u32 v4, v157, s24
	s_delay_alu instid0(VALU_DEP_2)
	v_mul_lo_u32 v9, v156, s25
	s_load_b64 s[26:27], s[18:19], 0x0
	v_mad_co_u64_u32 v[7:8], null, v156, s24, 0
	s_load_b64 s[24:25], s[16:17], 0x0
	s_add_nc_u64 s[20:21], s[20:21], 1
	s_add_nc_u64 s[16:17], s[16:17], 8
	s_wait_alu 0xfffe
	v_cmp_ge_u64_e64 s2, s[20:21], s[10:11]
	s_add_nc_u64 s[18:19], s[18:19], 8
	s_add_nc_u64 s[22:23], s[22:23], 8
	v_add3_u32 v4, v8, v9, v4
	v_sub_co_u32 v5, vcc_lo, v5, v7
	s_wait_alu 0xfffd
	s_delay_alu instid0(VALU_DEP_2) | instskip(SKIP_2) | instid1(VALU_DEP_1)
	v_sub_co_ci_u32_e32 v4, vcc_lo, v6, v4, vcc_lo
	s_and_b32 vcc_lo, exec_lo, s2
	s_wait_kmcnt 0x0
	v_mul_lo_u32 v6, s26, v4
	v_mul_lo_u32 v7, s27, v5
	v_mad_co_u64_u32 v[1:2], null, s26, v5, v[1:2]
	v_mul_lo_u32 v4, s24, v4
	v_mul_lo_u32 v8, s25, v5
	v_mad_co_u64_u32 v[154:155], null, s24, v5, v[154:155]
	s_delay_alu instid0(VALU_DEP_4) | instskip(NEXT) | instid1(VALU_DEP_2)
	v_add3_u32 v2, v7, v2, v6
	v_add3_u32 v155, v8, v155, v4
	s_wait_alu 0xfffe
	s_cbranch_vccnz .LBB0_9
; %bb.7:                                ;   in Loop: Header=BB0_2 Depth=1
	v_dual_mov_b32 v5, v156 :: v_dual_mov_b32 v6, v157
	s_branch .LBB0_2
.LBB0_8:
	v_dual_mov_b32 v155, v2 :: v_dual_mov_b32 v154, v1
	v_dual_mov_b32 v157, v6 :: v_dual_mov_b32 v156, v5
.LBB0_9:
	s_load_b64 s[0:1], s[0:1], 0x28
	v_mul_hi_u32 v3, 0x2d82d83, v0
	s_lshl_b64 s[10:11], s[10:11], 3
                                        ; implicit-def: $vgpr152
	s_wait_alu 0xfffe
	s_add_nc_u64 s[2:3], s[14:15], s[10:11]
	s_wait_kmcnt 0x0
	v_cmp_gt_u64_e32 vcc_lo, s[0:1], v[156:157]
	v_cmp_le_u64_e64 s0, s[0:1], v[156:157]
	s_delay_alu instid0(VALU_DEP_1)
	s_and_saveexec_b32 s1, s0
	s_wait_alu 0xfffe
	s_xor_b32 s0, exec_lo, s1
; %bb.10:
	v_mul_u32_u24_e32 v1, 0x5a, v3
                                        ; implicit-def: $vgpr3
	s_delay_alu instid0(VALU_DEP_1)
	v_sub_nc_u32_e32 v152, v0, v1
                                        ; implicit-def: $vgpr0
                                        ; implicit-def: $vgpr1_vgpr2
; %bb.11:
	s_wait_alu 0xfffe
	s_or_saveexec_b32 s1, s0
	s_load_b64 s[2:3], s[2:3], 0x0
	s_xor_b32 exec_lo, exec_lo, s1
	s_cbranch_execz .LBB0_15
; %bb.12:
	s_add_nc_u64 s[10:11], s[12:13], s[10:11]
	v_lshlrev_b64_e32 v[1:2], 4, v[1:2]
	s_load_b64 s[10:11], s[10:11], 0x0
	s_wait_kmcnt 0x0
	v_mul_lo_u32 v6, s11, v156
	v_mul_lo_u32 v7, s10, v157
	v_mad_co_u64_u32 v[4:5], null, s10, v156, 0
	s_delay_alu instid0(VALU_DEP_1) | instskip(SKIP_1) | instid1(VALU_DEP_2)
	v_add3_u32 v5, v5, v7, v6
	v_mul_u32_u24_e32 v6, 0x5a, v3
	v_lshlrev_b64_e32 v[3:4], 4, v[4:5]
	s_delay_alu instid0(VALU_DEP_2) | instskip(NEXT) | instid1(VALU_DEP_1)
	v_sub_nc_u32_e32 v152, v0, v6
	v_lshlrev_b32_e32 v122, 4, v152
	s_delay_alu instid0(VALU_DEP_3) | instskip(SKIP_1) | instid1(VALU_DEP_4)
	v_add_co_u32 v0, s0, s4, v3
	s_wait_alu 0xf1ff
	v_add_co_ci_u32_e64 v3, s0, s5, v4, s0
	s_delay_alu instid0(VALU_DEP_2) | instskip(SKIP_1) | instid1(VALU_DEP_2)
	v_add_co_u32 v0, s0, v0, v1
	s_wait_alu 0xf1ff
	v_add_co_ci_u32_e64 v1, s0, v3, v2, s0
	s_delay_alu instid0(VALU_DEP_2) | instskip(SKIP_1) | instid1(VALU_DEP_2)
	v_add_co_u32 v118, s0, v0, v122
	s_wait_alu 0xf1ff
	v_add_co_ci_u32_e64 v119, s0, 0, v1, s0
	s_clause 0x1d
	global_load_b128 v[2:5], v[118:119], off offset:1440
	global_load_b128 v[6:9], v[118:119], off offset:2880
	;; [unrolled: 1-line block ×28, first 2 shown]
	global_load_b128 v[114:117], v[118:119], off
	global_load_b128 v[118:121], v[118:119], off offset:41760
	v_add_nc_u32_e32 v122, 0, v122
	v_cmp_eq_u32_e64 s0, 0x59, v152
	s_wait_loadcnt 0x1d
	ds_store_b128 v122, v[2:5] offset:1440
	s_wait_loadcnt 0x1c
	ds_store_b128 v122, v[6:9] offset:2880
	;; [unrolled: 2-line block ×28, first 2 shown]
	s_wait_loadcnt 0x1
	ds_store_b128 v122, v[114:117]
	s_wait_loadcnt 0x0
	ds_store_b128 v122, v[118:121] offset:41760
	s_and_saveexec_b32 s4, s0
	s_cbranch_execz .LBB0_14
; %bb.13:
	global_load_b128 v[0:3], v[0:1], off offset:43200
	v_mov_b32_e32 v4, 0
	v_mov_b32_e32 v152, 0x59
	s_wait_loadcnt 0x0
	ds_store_b128 v4, v[0:3] offset:43200
.LBB0_14:
	s_wait_alu 0xfffe
	s_or_b32 exec_lo, exec_lo, s4
.LBB0_15:
	s_delay_alu instid0(SALU_CYCLE_1)
	s_or_b32 exec_lo, exec_lo, s1
	v_lshlrev_b32_e32 v0, 4, v152
	global_wb scope:SCOPE_SE
	s_wait_dscnt 0x0
	s_wait_kmcnt 0x0
	s_barrier_signal -1
	s_barrier_wait -1
	global_inv scope:SCOPE_SE
	v_add_nc_u32_e32 v160, 0, v0
	v_sub_nc_u32_e32 v10, 0, v0
	s_mov_b32 s1, exec_lo
                                        ; implicit-def: $vgpr4_vgpr5
	ds_load_b64 v[6:7], v160
	ds_load_b64 v[8:9], v10 offset:43200
	s_wait_dscnt 0x0
	v_add_f64_e32 v[0:1], v[6:7], v[8:9]
	v_add_f64_e64 v[2:3], v[6:7], -v[8:9]
	v_cmpx_ne_u32_e32 0, v152
	s_wait_alu 0xfffe
	s_xor_b32 s1, exec_lo, s1
	s_cbranch_execz .LBB0_17
; %bb.16:
	v_mov_b32_e32 v153, 0
	v_add_f64_e32 v[13:14], v[6:7], v[8:9]
	v_add_f64_e64 v[15:16], v[6:7], -v[8:9]
	s_delay_alu instid0(VALU_DEP_3) | instskip(NEXT) | instid1(VALU_DEP_1)
	v_lshlrev_b64_e32 v[0:1], 4, v[152:153]
	v_add_co_u32 v0, s0, s8, v0
	s_wait_alu 0xf1ff
	s_delay_alu instid0(VALU_DEP_2)
	v_add_co_ci_u32_e64 v1, s0, s9, v1, s0
	global_load_b128 v[2:5], v[0:1], off offset:43152
	ds_load_b64 v[0:1], v10 offset:43208
	ds_load_b64 v[11:12], v160 offset:8
	s_wait_dscnt 0x0
	v_add_f64_e32 v[6:7], v[0:1], v[11:12]
	v_add_f64_e64 v[0:1], v[11:12], -v[0:1]
	s_wait_loadcnt 0x0
	v_fma_f64 v[8:9], v[15:16], v[4:5], v[13:14]
	v_fma_f64 v[11:12], -v[15:16], v[4:5], v[13:14]
	s_delay_alu instid0(VALU_DEP_3) | instskip(SKIP_1) | instid1(VALU_DEP_4)
	v_fma_f64 v[13:14], v[6:7], v[4:5], -v[0:1]
	v_fma_f64 v[4:5], v[6:7], v[4:5], v[0:1]
	v_fma_f64 v[0:1], -v[6:7], v[2:3], v[8:9]
	s_delay_alu instid0(VALU_DEP_4) | instskip(NEXT) | instid1(VALU_DEP_4)
	v_fma_f64 v[6:7], v[6:7], v[2:3], v[11:12]
	v_fma_f64 v[8:9], v[15:16], v[2:3], v[13:14]
	s_delay_alu instid0(VALU_DEP_4)
	v_fma_f64 v[2:3], v[15:16], v[2:3], v[4:5]
	v_dual_mov_b32 v4, v152 :: v_dual_mov_b32 v5, v153
	ds_store_b128 v10, v[6:9] offset:43200
.LBB0_17:
	s_wait_alu 0xfffe
	s_and_not1_saveexec_b32 s0, s1
	s_cbranch_execz .LBB0_19
; %bb.18:
	v_mov_b32_e32 v8, 0
	ds_load_b128 v[4:7], v8 offset:21600
	s_wait_dscnt 0x0
	v_add_f64_e32 v[11:12], v[4:5], v[4:5]
	v_mul_f64_e32 v[13:14], -2.0, v[6:7]
	v_mov_b32_e32 v4, 0
	v_mov_b32_e32 v5, 0
	ds_store_b128 v8, v[11:14] offset:21600
.LBB0_19:
	s_wait_alu 0xfffe
	s_or_b32 exec_lo, exec_lo, s0
	v_lshlrev_b64_e32 v[4:5], 4, v[4:5]
	s_add_nc_u64 s[0:1], s[8:9], 0xa890
	v_and_b32_e32 v118, 0xff, v152
	s_mov_b32 s4, 0xe8584caa
	s_mov_b32 s5, 0x3febb67a
	s_mov_b32 s11, 0xbfebb67a
	s_wait_alu 0xfffe
	v_add_co_u32 v4, s0, s0, v4
	s_wait_alu 0xf1ff
	v_add_co_ci_u32_e64 v5, s0, s1, v5, s0
	s_mov_b32 s10, s4
	v_mad_u32_u24 v117, v152, 48, 0
	s_mov_b32 s12, 0x134454ff
	s_clause 0x1
	global_load_b128 v[6:9], v[4:5], off offset:1440
	global_load_b128 v[11:14], v[4:5], off offset:2880
	ds_store_b128 v160, v[0:3]
	ds_load_b128 v[0:3], v160 offset:1440
	ds_load_b128 v[15:18], v10 offset:41760
	global_load_b128 v[19:22], v[4:5], off offset:4320
	v_add_nc_u32_e32 v151, 0x5468, v117
	v_add_nc_u32_e32 v153, 0x5478, v117
	;; [unrolled: 1-line block ×10, first 2 shown]
	s_mov_b32 s13, 0x3fee6f0e
	s_mov_b32 s17, 0xbfee6f0e
	;; [unrolled: 1-line block ×8, first 2 shown]
	s_wait_dscnt 0x0
	v_add_f64_e32 v[23:24], v[0:1], v[15:16]
	v_add_f64_e32 v[25:26], v[17:18], v[2:3]
	v_add_f64_e64 v[27:28], v[0:1], -v[15:16]
	v_add_f64_e64 v[0:1], v[2:3], -v[17:18]
	s_mov_b32 s19, 0x3fd3c6ef
	s_mov_b32 s22, 0x9b97f4a8
	;; [unrolled: 1-line block ×3, first 2 shown]
	v_cmp_gt_u32_e64 s0, 30, v152
	s_wait_loadcnt 0x2
	s_delay_alu instid0(VALU_DEP_3) | instskip(NEXT) | instid1(VALU_DEP_3)
	v_fma_f64 v[2:3], v[27:28], v[8:9], v[23:24]
	v_fma_f64 v[15:16], v[25:26], v[8:9], v[0:1]
	v_fma_f64 v[17:18], -v[27:28], v[8:9], v[23:24]
	v_fma_f64 v[8:9], v[25:26], v[8:9], -v[0:1]
	s_delay_alu instid0(VALU_DEP_4) | instskip(NEXT) | instid1(VALU_DEP_4)
	v_fma_f64 v[0:1], -v[25:26], v[6:7], v[2:3]
	v_fma_f64 v[2:3], v[27:28], v[6:7], v[15:16]
	s_delay_alu instid0(VALU_DEP_4) | instskip(NEXT) | instid1(VALU_DEP_4)
	v_fma_f64 v[15:16], v[25:26], v[6:7], v[17:18]
	v_fma_f64 v[17:18], v[27:28], v[6:7], v[8:9]
	ds_store_b128 v160, v[0:3] offset:1440
	ds_store_b128 v10, v[15:18] offset:41760
	ds_load_b128 v[0:3], v160 offset:2880
	ds_load_b128 v[6:9], v10 offset:40320
	global_load_b128 v[15:18], v[4:5], off offset:5760
	s_wait_dscnt 0x0
	v_add_f64_e32 v[23:24], v[0:1], v[6:7]
	v_add_f64_e32 v[25:26], v[8:9], v[2:3]
	v_add_f64_e64 v[27:28], v[0:1], -v[6:7]
	v_add_f64_e64 v[0:1], v[2:3], -v[8:9]
	s_wait_loadcnt 0x2
	s_delay_alu instid0(VALU_DEP_2) | instskip(NEXT) | instid1(VALU_DEP_2)
	v_fma_f64 v[2:3], v[27:28], v[13:14], v[23:24]
	v_fma_f64 v[6:7], v[25:26], v[13:14], v[0:1]
	v_fma_f64 v[8:9], -v[27:28], v[13:14], v[23:24]
	v_fma_f64 v[13:14], v[25:26], v[13:14], -v[0:1]
	s_delay_alu instid0(VALU_DEP_4) | instskip(NEXT) | instid1(VALU_DEP_4)
	v_fma_f64 v[0:1], -v[25:26], v[11:12], v[2:3]
	v_fma_f64 v[2:3], v[27:28], v[11:12], v[6:7]
	s_delay_alu instid0(VALU_DEP_4) | instskip(NEXT) | instid1(VALU_DEP_4)
	v_fma_f64 v[6:7], v[25:26], v[11:12], v[8:9]
	v_fma_f64 v[8:9], v[27:28], v[11:12], v[13:14]
	ds_store_b128 v160, v[0:3] offset:2880
	ds_store_b128 v10, v[6:9] offset:40320
	ds_load_b128 v[0:3], v160 offset:4320
	ds_load_b128 v[6:9], v10 offset:38880
	global_load_b128 v[11:14], v[4:5], off offset:7200
	s_wait_dscnt 0x0
	v_add_f64_e32 v[23:24], v[0:1], v[6:7]
	v_add_f64_e32 v[25:26], v[8:9], v[2:3]
	v_add_f64_e64 v[27:28], v[0:1], -v[6:7]
	v_add_f64_e64 v[0:1], v[2:3], -v[8:9]
	s_wait_loadcnt 0x2
	s_delay_alu instid0(VALU_DEP_2) | instskip(NEXT) | instid1(VALU_DEP_2)
	;; [unrolled: 22-line block ×11, first 2 shown]
	v_fma_f64 v[2:3], v[6:7], v[21:22], v[4:5]
	v_fma_f64 v[8:9], v[23:24], v[21:22], v[0:1]
	v_fma_f64 v[4:5], -v[6:7], v[21:22], v[4:5]
	v_fma_f64 v[21:22], v[23:24], v[21:22], -v[0:1]
	s_delay_alu instid0(VALU_DEP_4) | instskip(NEXT) | instid1(VALU_DEP_4)
	v_fma_f64 v[0:1], -v[23:24], v[19:20], v[2:3]
	v_fma_f64 v[2:3], v[6:7], v[19:20], v[8:9]
	s_delay_alu instid0(VALU_DEP_4) | instskip(NEXT) | instid1(VALU_DEP_4)
	v_fma_f64 v[4:5], v[23:24], v[19:20], v[4:5]
	v_fma_f64 v[6:7], v[6:7], v[19:20], v[21:22]
	ds_store_b128 v160, v[0:3] offset:17280
	ds_store_b128 v10, v[4:7] offset:25920
	ds_load_b128 v[0:3], v160 offset:18720
	ds_load_b128 v[4:7], v10 offset:24480
	s_wait_dscnt 0x0
	v_add_f64_e32 v[8:9], v[0:1], v[4:5]
	v_add_f64_e32 v[19:20], v[6:7], v[2:3]
	v_add_f64_e64 v[21:22], v[0:1], -v[4:5]
	v_add_f64_e64 v[0:1], v[2:3], -v[6:7]
	s_wait_loadcnt 0x1
	s_delay_alu instid0(VALU_DEP_2) | instskip(NEXT) | instid1(VALU_DEP_2)
	v_fma_f64 v[2:3], v[21:22], v[17:18], v[8:9]
	v_fma_f64 v[4:5], v[19:20], v[17:18], v[0:1]
	v_fma_f64 v[6:7], -v[21:22], v[17:18], v[8:9]
	v_fma_f64 v[8:9], v[19:20], v[17:18], -v[0:1]
	s_delay_alu instid0(VALU_DEP_4) | instskip(NEXT) | instid1(VALU_DEP_4)
	v_fma_f64 v[0:1], -v[19:20], v[15:16], v[2:3]
	v_fma_f64 v[2:3], v[21:22], v[15:16], v[4:5]
	s_delay_alu instid0(VALU_DEP_4) | instskip(NEXT) | instid1(VALU_DEP_4)
	v_fma_f64 v[4:5], v[19:20], v[15:16], v[6:7]
	v_fma_f64 v[6:7], v[21:22], v[15:16], v[8:9]
	ds_store_b128 v160, v[0:3] offset:18720
	ds_store_b128 v10, v[4:7] offset:24480
	ds_load_b128 v[0:3], v160 offset:20160
	ds_load_b128 v[4:7], v10 offset:23040
	s_wait_dscnt 0x0
	v_add_f64_e32 v[8:9], v[0:1], v[4:5]
	v_add_f64_e32 v[15:16], v[6:7], v[2:3]
	v_add_f64_e64 v[17:18], v[0:1], -v[4:5]
	v_add_f64_e64 v[0:1], v[2:3], -v[6:7]
	s_wait_loadcnt 0x0
	s_delay_alu instid0(VALU_DEP_2) | instskip(NEXT) | instid1(VALU_DEP_2)
	v_fma_f64 v[2:3], v[17:18], v[13:14], v[8:9]
	v_fma_f64 v[4:5], v[15:16], v[13:14], v[0:1]
	v_fma_f64 v[6:7], -v[17:18], v[13:14], v[8:9]
	v_fma_f64 v[8:9], v[15:16], v[13:14], -v[0:1]
	s_delay_alu instid0(VALU_DEP_4) | instskip(NEXT) | instid1(VALU_DEP_4)
	v_fma_f64 v[0:1], -v[15:16], v[11:12], v[2:3]
	v_fma_f64 v[2:3], v[17:18], v[11:12], v[4:5]
	s_delay_alu instid0(VALU_DEP_4) | instskip(NEXT) | instid1(VALU_DEP_4)
	v_fma_f64 v[4:5], v[15:16], v[11:12], v[6:7]
	v_fma_f64 v[6:7], v[17:18], v[11:12], v[8:9]
	v_mul_lo_u16 v8, 0xab, v118
	ds_store_b128 v160, v[0:3] offset:20160
	ds_store_b128 v10, v[4:7] offset:23040
	v_lshrrev_b16 v119, 9, v8
	global_wb scope:SCOPE_SE
	s_wait_dscnt 0x0
	s_barrier_signal -1
	s_barrier_wait -1
	global_inv scope:SCOPE_SE
	v_mul_lo_u16 v8, v119, 3
	global_wb scope:SCOPE_SE
	s_barrier_signal -1
	s_barrier_wait -1
	global_inv scope:SCOPE_SE
	v_sub_nc_u16 v8, v152, v8
	v_mul_lo_u16 v118, 0x89, v118
	s_delay_alu instid0(VALU_DEP_2) | instskip(NEXT) | instid1(VALU_DEP_1)
	v_and_b32_e32 v122, 0xff, v8
	v_mul_u32_u24_e32 v8, 9, v122
	v_lshlrev_b32_e32 v255, 4, v122
	s_delay_alu instid0(VALU_DEP_2)
	v_lshlrev_b32_e32 v24, 4, v8
	ds_load_b128 v[0:3], v160 offset:1440
	ds_load_b128 v[4:7], v160 offset:2880
	;; [unrolled: 1-line block ×6, first 2 shown]
	ds_load_b128 v[25:28], v160
	ds_load_b128 v[29:32], v160 offset:41760
	ds_load_b128 v[33:36], v160 offset:30240
	;; [unrolled: 1-line block ×23, first 2 shown]
	s_wait_dscnt 0x17
	v_add_f64_e32 v[127:128], v[27:28], v[18:19]
	v_add_f64_e32 v[120:121], v[25:26], v[16:17]
	;; [unrolled: 1-line block ×4, first 2 shown]
	s_wait_dscnt 0xf
	v_add_f64_e32 v[137:138], v[16:17], v[57:58]
	v_add_f64_e64 v[139:140], v[18:19], -v[59:60]
	v_add_f64_e32 v[18:19], v[18:19], v[59:60]
	v_add_f64_e64 v[141:142], v[16:17], -v[57:58]
	v_add_f64_e32 v[16:17], v[8:9], v[33:34]
	v_add_f64_e32 v[149:150], v[10:11], v[35:36]
	v_add_f64_e32 v[135:136], v[6:7], v[14:15]
	v_add_f64_e32 v[161:162], v[12:13], v[37:38]
	v_add_f64_e32 v[165:166], v[14:15], v[39:40]
	v_add_f64_e32 v[145:146], v[43:44], v[51:52]
	s_wait_dscnt 0xd
	v_add_f64_e32 v[169:170], v[49:50], v[65:66]
	v_add_f64_e64 v[171:172], v[51:52], -v[67:68]
	v_add_f64_e32 v[51:52], v[51:52], v[67:68]
	v_add_f64_e32 v[143:144], v[41:42], v[49:50]
	s_wait_dscnt 0xc
	v_add_f64_e32 v[177:178], v[53:54], v[69:70]
	v_add_f64_e32 v[179:180], v[55:56], v[71:72]
	s_wait_dscnt 0x7
	;; [unrolled: 3-line block ×5, first 2 shown]
	v_add_f64_e32 v[209:210], v[109:110], v[123:124]
	v_add_f64_e32 v[211:212], v[111:112], v[125:126]
	;; [unrolled: 1-line block ×10, first 2 shown]
	v_add_f64_e64 v[147:148], v[10:11], -v[35:36]
	v_add_f64_e64 v[158:159], v[8:9], -v[33:34]
	;; [unrolled: 1-line block ×5, first 2 shown]
	v_add_f64_e32 v[49:50], v[45:46], v[53:54]
	v_fma_f64 v[25:26], v[137:138], -0.5, v[25:26]
	v_add_f64_e64 v[181:182], v[53:54], -v[69:70]
	v_fma_f64 v[27:28], v[18:19], -0.5, v[27:28]
	v_add_f64_e32 v[53:54], v[73:74], v[81:82]
	v_add_f64_e32 v[189:190], v[77:78], v[85:86]
	;; [unrolled: 1-line block ×8, first 2 shown]
	v_fma_f64 v[33:34], v[16:17], -0.5, v[0:1]
	v_fma_f64 v[35:36], v[149:150], -0.5, v[2:3]
	v_add_f64_e32 v[8:9], v[120:121], v[57:58]
	v_add_f64_e32 v[2:3], v[135:136], v[39:40]
	v_fma_f64 v[39:40], v[161:162], -0.5, v[4:5]
	v_fma_f64 v[57:58], v[165:166], -0.5, v[6:7]
	v_add_f64_e32 v[10:11], v[127:128], v[59:60]
	v_fma_f64 v[59:60], v[169:170], -0.5, v[41:42]
	v_fma_f64 v[51:52], v[51:52], -0.5, v[43:44]
	v_add_f64_e64 v[55:56], v[55:56], -v[71:72]
	v_add_f64_e32 v[4:5], v[143:144], v[65:66]
	v_add_f64_e32 v[6:7], v[145:146], v[67:68]
	v_fma_f64 v[65:66], v[177:178], -0.5, v[45:46]
	v_fma_f64 v[67:68], v[179:180], -0.5, v[47:48]
	v_add_f64_e64 v[83:84], v[83:84], -v[91:92]
	v_fma_f64 v[73:74], v[185:186], -0.5, v[73:74]
	v_add_f64_e64 v[81:82], v[81:82], -v[89:90]
	;; [unrolled: 2-line block ×5, first 2 shown]
	v_add_f64_e64 v[105:106], v[105:106], -v[113:114]
	v_fma_f64 v[97:98], v[201:202], -0.5, v[97:98]
	v_fma_f64 v[99:100], v[203:204], -0.5, v[99:100]
	v_add_f64_e64 v[111:112], v[111:112], -v[125:126]
	v_fma_f64 v[101:102], v[209:210], -0.5, v[101:102]
	v_add_f64_e64 v[109:110], v[109:110], -v[123:124]
	;; [unrolled: 2-line block ×3, first 2 shown]
	v_add_f64_e32 v[18:19], v[175:176], v[71:72]
	v_add_f64_e32 v[71:72], v[183:184], v[91:92]
	;; [unrolled: 1-line block ×5, first 2 shown]
	v_fma_f64 v[125:126], v[217:218], -0.5, v[20:21]
	v_add_f64_e64 v[61:62], v[61:62], -v[29:30]
	v_fma_f64 v[127:128], v[219:220], -0.5, v[22:23]
	v_fma_f64 v[20:21], v[139:140], s[4:5], v[25:26]
	s_wait_alu 0xfffe
	v_fma_f64 v[22:23], v[141:142], s[10:11], v[27:28]
	v_fma_f64 v[25:26], v[139:140], s[10:11], v[25:26]
	;; [unrolled: 1-line block ×3, first 2 shown]
	v_add_f64_e32 v[16:17], v[49:50], v[69:70]
	v_add_f64_e32 v[69:70], v[53:54], v[89:90]
	;; [unrolled: 1-line block ×7, first 2 shown]
	v_fma_f64 v[29:30], v[147:148], s[4:5], v[33:34]
	v_fma_f64 v[31:32], v[158:159], s[10:11], v[35:36]
	;; [unrolled: 1-line block ×4, first 2 shown]
	v_add_f64_e32 v[0:1], v[133:134], v[37:38]
	v_fma_f64 v[37:38], v[163:164], s[4:5], v[39:40]
	v_fma_f64 v[41:42], v[163:164], s[10:11], v[39:40]
	;; [unrolled: 1-line block ×32, first 2 shown]
	global_wb scope:SCOPE_SE
	s_barrier_signal -1
	s_barrier_wait -1
	global_inv scope:SCOPE_SE
	ds_store_b128 v117, v[8:11]
	ds_store_b128 v117, v[20:23] offset:16
	ds_store_b128 v117, v[25:28] offset:32
	;; [unrolled: 1-line block ×14, first 2 shown]
	ds_store_b64 v117, v[69:70] offset:21600
	ds_store_2addr_b64 v151, v[71:72], v[65:66] offset1:1
	ds_store_2addr_b64 v153, v[73:74], v[67:68] offset1:1
	ds_store_b64 v117, v[75:76] offset:21640
	ds_store_b64 v117, v[89:90] offset:25920
	ds_store_2addr_b64 v221, v[91:92], v[81:82] offset1:1
	ds_store_2addr_b64 v222, v[83:84], v[77:78] offset1:1
	ds_store_b64 v117, v[79:80] offset:25960
	;; [unrolled: 4-line block ×5, first 2 shown]
	global_wb scope:SCOPE_SE
	s_wait_dscnt 0x0
	s_barrier_signal -1
	s_barrier_wait -1
	global_inv scope:SCOPE_SE
	s_clause 0x1
	global_load_b128 v[0:3], v24, s[8:9]
	global_load_b128 v[4:7], v24, s[8:9] offset:16
	v_add_nc_u32_e32 v151, 0x5a, v152
	s_clause 0x4
	global_load_b128 v[20:23], v24, s[8:9] offset:32
	global_load_b128 v[16:19], v24, s[8:9] offset:48
	;; [unrolled: 1-line block ×5, first 2 shown]
	v_and_b32_e32 v120, 0xff, v151
	v_add_nc_u32_e32 v117, 0xb4, v152
	global_load_b128 v[64:67], v24, s[8:9] offset:128
	v_lshrrev_b16 v116, 12, v118
	v_and_b32_e32 v118, 0xffff, v119
	v_mul_lo_u16 v8, 0xab, v120
	v_and_b32_e32 v121, 0xffff, v117
	s_delay_alu instid0(VALU_DEP_4) | instskip(NEXT) | instid1(VALU_DEP_3)
	v_mul_lo_u16 v119, v116, 30
	v_lshrrev_b16 v123, 9, v8
	global_load_b128 v[8:11], v24, s[8:9] offset:80
	v_mul_lo_u16 v25, v123, 3
	s_delay_alu instid0(VALU_DEP_1) | instskip(NEXT) | instid1(VALU_DEP_1)
	v_sub_nc_u16 v25, v151, v25
	v_and_b32_e32 v124, 0xff, v25
	v_mul_u32_u24_e32 v25, 0xaaab, v121
	s_delay_alu instid0(VALU_DEP_2) | instskip(NEXT) | instid1(VALU_DEP_2)
	v_mul_u32_u24_e32 v26, 9, v124
	v_lshrrev_b32_e32 v126, 17, v25
	s_delay_alu instid0(VALU_DEP_2) | instskip(NEXT) | instid1(VALU_DEP_2)
	v_lshlrev_b32_e32 v36, 4, v26
	v_mul_lo_u16 v24, v126, 3
	s_clause 0x1
	global_load_b128 v[60:63], v36, s[8:9]
	global_load_b128 v[56:59], v36, s[8:9] offset:16
	v_sub_nc_u16 v24, v117, v24
	s_clause 0x3
	global_load_b128 v[52:55], v36, s[8:9] offset:32
	global_load_b128 v[44:47], v36, s[8:9] offset:48
	;; [unrolled: 1-line block ×4, first 2 shown]
	v_and_b32_e32 v125, 0xffff, v24
	s_clause 0x1
	global_load_b128 v[28:31], v36, s[8:9] offset:96
	global_load_b128 v[24:27], v36, s[8:9] offset:112
	v_mul_u32_u24_e32 v37, 9, v125
	s_delay_alu instid0(VALU_DEP_1)
	v_lshlrev_b32_e32 v104, 4, v37
	s_clause 0x9
	global_load_b128 v[36:39], v36, s[8:9] offset:128
	global_load_b128 v[48:51], v104, s[8:9]
	global_load_b128 v[76:79], v104, s[8:9] offset:16
	global_load_b128 v[80:83], v104, s[8:9] offset:32
	;; [unrolled: 1-line block ×8, first 2 shown]
	ds_load_b128 v[112:115], v160 offset:4320
	ds_load_b128 v[108:111], v160 offset:8640
	;; [unrolled: 1-line block ×4, first 2 shown]
	scratch_store_b32 off, v116, off        ; 4-byte Folded Spill
	ds_load_b128 v[135:138], v160 offset:5760
	ds_load_b128 v[139:142], v160 offset:21600
	;; [unrolled: 1-line block ×20, first 2 shown]
	v_add_nc_u32_e32 v116, 0x276, v152
	s_wait_loadcnt_dscnt 0x1a17
	v_mul_f64_e32 v[158:159], v[114:115], v[2:3]
	v_mul_f64_e32 v[225:226], v[112:113], v[2:3]
	s_wait_loadcnt_dscnt 0x1916
	v_mul_f64_e32 v[229:230], v[110:111], v[6:7]
	v_mul_f64_e32 v[6:7], v[108:109], v[6:7]
	;; [unrolled: 3-line block ×6, first 2 shown]
	v_sub_nc_u16 v3, v152, v119
	s_wait_loadcnt_dscnt 0x140c
	v_mul_f64_e32 v[243:244], v[175:176], v[70:71]
	v_mul_f64_e32 v[70:71], v[173:174], v[70:71]
	v_mul_u32_u24_e32 v2, 0x1e0, v118
	v_and_b32_e32 v118, 0xffff, v123
	v_and_b32_e32 v153, 0xff, v3
	s_wait_loadcnt 0x12
	v_mul_f64_e32 v[239:240], v[149:150], v[10:11]
	v_mul_f64_e32 v[10:11], v[147:148], v[10:11]
	v_add3_u32 v2, 0, v2, v255
	v_fma_f64 v[158:159], v[112:113], v[0:1], -v[158:159]
	v_fma_f64 v[245:246], v[114:115], v[0:1], v[225:226]
	ds_load_b128 v[112:115], v160 offset:36000
	ds_load_b128 v[225:228], v160 offset:37440
	v_fma_f64 v[229:230], v[108:109], v[4:5], -v[229:230]
	v_fma_f64 v[247:248], v[110:111], v[4:5], v[6:7]
	s_wait_dscnt 0x9
	v_mul_f64_e32 v[0:1], v[195:196], v[66:67]
	v_mul_f64_e32 v[3:4], v[193:194], v[66:67]
	v_fma_f64 v[22:23], v[129:130], v[20:21], v[22:23]
	v_fma_f64 v[66:67], v[127:128], v[20:21], -v[231:232]
	s_wait_loadcnt 0x11
	v_mul_f64_e32 v[5:6], v[137:138], v[62:63]
	v_mul_f64_e32 v[62:63], v[135:136], v[62:63]
	s_wait_loadcnt_dscnt 0x1007
	v_mul_f64_e32 v[129:130], v[203:204], v[58:59]
	v_fma_f64 v[127:128], v[131:132], v[16:17], -v[233:234]
	v_fma_f64 v[16:17], v[133:134], v[16:17], v[235:236]
	v_mul_f64_e32 v[58:59], v[201:202], v[58:59]
	s_wait_loadcnt 0xf
	v_mul_f64_e32 v[131:132], v[163:164], v[54:55]
	v_mul_f64_e32 v[54:55], v[161:162], v[54:55]
	v_fma_f64 v[133:134], v[139:140], v[12:13], -v[237:238]
	v_fma_f64 v[14:15], v[141:142], v[12:13], v[14:15]
	s_wait_loadcnt_dscnt 0xe05
	v_mul_f64_e32 v[12:13], v[211:212], v[46:47]
	v_mul_f64_e32 v[46:47], v[209:210], v[46:47]
	s_wait_loadcnt 0xd
	v_mul_f64_e32 v[139:140], v[179:180], v[42:43]
	v_mul_f64_e32 v[42:43], v[177:178], v[42:43]
	v_fma_f64 v[141:142], v[147:148], v[8:9], -v[239:240]
	v_fma_f64 v[147:148], v[149:150], v[8:9], v[10:11]
	s_wait_loadcnt_dscnt 0xc03
	v_mul_f64_e32 v[149:150], v[219:220], v[34:35]
	;; [unrolled: 8-line block ×3, first 2 shown]
	v_mul_f64_e32 v[26:27], v[112:113], v[26:27]
	ds_load_b128 v[18:21], v160 offset:41760
	ds_load_b128 v[108:111], v160
	s_wait_loadcnt 0x9
	v_mul_f64_e32 v[167:168], v[199:200], v[38:39]
	v_mul_f64_e32 v[38:39], v[197:198], v[38:39]
	v_fma_f64 v[173:174], v[173:174], v[68:69], -v[243:244]
	v_fma_f64 v[68:69], v[175:176], v[68:69], v[70:71]
	s_wait_loadcnt 0x8
	v_mul_f64_e32 v[70:71], v[145:146], v[50:51]
	v_mul_f64_e32 v[50:51], v[143:144], v[50:51]
	s_wait_loadcnt 0x7
	v_mul_f64_e32 v[175:176], v[207:208], v[78:79]
	v_mul_f64_e32 v[78:79], v[205:206], v[78:79]
	s_wait_loadcnt 0x5
	v_mul_f64_e32 v[233:234], v[215:216], v[86:87]
	v_fma_f64 v[193:194], v[193:194], v[64:65], -v[0:1]
	v_fma_f64 v[64:65], v[195:196], v[64:65], v[3:4]
	v_mul_f64_e32 v[195:196], v[171:172], v[82:83]
	v_mul_f64_e32 v[82:83], v[169:170], v[82:83]
	;; [unrolled: 1-line block ×3, first 2 shown]
	v_fma_f64 v[135:136], v[135:136], v[60:61], -v[5:6]
	v_fma_f64 v[60:61], v[137:138], v[60:61], v[62:63]
	s_wait_loadcnt 0x4
	v_mul_f64_e32 v[62:63], v[183:184], v[90:91]
	v_mul_f64_e32 v[90:91], v[181:182], v[90:91]
	s_wait_loadcnt 0x3
	v_mul_f64_e32 v[137:138], v[223:224], v[94:95]
	v_mul_f64_e32 v[94:95], v[221:222], v[94:95]
	v_fma_f64 v[129:130], v[201:202], v[56:57], -v[129:130]
	s_wait_loadcnt_dscnt 0x102
	v_mul_f64_e32 v[201:202], v[227:228], v[102:103]
	v_mul_f64_e32 v[102:103], v[225:226], v[102:103]
	v_fma_f64 v[56:57], v[203:204], v[56:57], v[58:59]
	v_mul_f64_e32 v[58:59], v[191:192], v[98:99]
	v_mul_f64_e32 v[98:99], v[189:190], v[98:99]
	v_fma_f64 v[131:132], v[161:162], v[52:53], -v[131:132]
	v_fma_f64 v[52:53], v[163:164], v[52:53], v[54:55]
	s_wait_loadcnt_dscnt 0x1
	v_mul_f64_e32 v[54:55], v[20:21], v[106:107]
	v_fma_f64 v[122:123], v[209:210], v[44:45], -v[12:13]
	v_fma_f64 v[44:45], v[211:212], v[44:45], v[46:47]
	v_fma_f64 v[46:47], v[177:178], v[40:41], -v[139:140]
	v_fma_f64 v[40:41], v[179:180], v[40:41], v[42:43]
	;; [unrolled: 2-line block ×4, first 2 shown]
	v_fma_f64 v[30:31], v[112:113], v[24:25], -v[74:75]
	v_mul_f64_e32 v[106:107], v[18:19], v[106:107]
	v_fma_f64 v[24:25], v[114:115], v[24:25], v[26:27]
	v_fma_f64 v[26:27], v[197:198], v[36:37], -v[167:168]
	v_fma_f64 v[36:37], v[199:200], v[36:37], v[38:39]
	v_fma_f64 v[38:39], v[143:144], v[48:49], -v[70:71]
	;; [unrolled: 2-line block ×4, first 2 shown]
	ds_load_b128 v[6:9], v160 offset:1440
	ds_load_b128 v[10:13], v160 offset:2880
	v_lshlrev_b32_e32 v3, 4, v124
	v_fma_f64 v[74:75], v[169:170], v[80:81], -v[195:196]
	v_fma_f64 v[76:77], v[171:172], v[80:81], v[82:83]
	v_fma_f64 v[80:81], v[215:216], v[84:85], v[86:87]
	v_lshlrev_b32_e32 v4, 4, v125
	v_add_f64_e64 v[112:113], v[229:230], -v[127:128]
	v_fma_f64 v[62:63], v[181:182], v[88:89], -v[62:63]
	v_fma_f64 v[82:83], v[183:184], v[88:89], v[90:91]
	v_fma_f64 v[84:85], v[221:222], v[92:93], -v[137:138]
	v_fma_f64 v[86:87], v[223:224], v[92:93], v[94:95]
	v_add_f64_e32 v[94:95], v[229:230], v[173:174]
	v_fma_f64 v[90:91], v[225:226], v[100:101], -v[201:202]
	v_fma_f64 v[92:93], v[227:228], v[100:101], v[102:103]
	s_wait_dscnt 0x2
	v_add_f64_e32 v[102:103], v[110:111], v[247:248]
	v_fma_f64 v[58:59], v[189:190], v[96:97], -v[58:59]
	v_fma_f64 v[88:89], v[191:192], v[96:97], v[98:99]
	v_add_f64_e32 v[96:97], v[16:17], v[147:148]
	v_add_f64_e32 v[98:99], v[247:248], v[68:69]
	v_fma_f64 v[18:19], v[18:19], v[104:105], -v[54:55]
	v_add_f64_e32 v[54:55], v[127:128], v[141:142]
	v_add_f64_e64 v[114:115], v[173:174], -v[141:142]
	v_add_f64_e64 v[124:125], v[247:248], -v[16:17]
	;; [unrolled: 1-line block ×3, first 2 shown]
	v_add_f64_e32 v[195:196], v[122:123], v[42:43]
	v_add_f64_e32 v[199:200], v[44:45], v[32:33]
	v_add_f64_e64 v[139:140], v[66:67], -v[133:134]
	v_add_f64_e64 v[143:144], v[193:194], -v[165:166]
	v_add_f64_e32 v[197:198], v[129:130], v[30:31]
	v_fma_f64 v[20:21], v[20:21], v[104:105], v[106:107]
	v_add_f64_e32 v[104:105], v[158:159], v[66:67]
	v_add_f64_e32 v[106:107], v[245:246], v[22:23]
	v_add_f64_e32 v[201:202], v[56:57], v[24:25]
	v_add_f64_e64 v[145:146], v[22:23], -v[14:15]
	v_add_f64_e64 v[149:150], v[64:65], -v[72:73]
	v_add_f64_e32 v[161:162], v[133:134], v[165:166]
	v_add_f64_e32 v[163:164], v[14:15], v[72:73]
	v_add_f64_e64 v[167:168], v[66:67], -v[193:194]
	v_add_f64_e64 v[171:172], v[22:23], -v[64:65]
	;; [unrolled: 1-line block ×7, first 2 shown]
	v_add_f64_e32 v[66:67], v[66:67], v[193:194]
	v_add_f64_e64 v[203:204], v[165:166], -v[193:194]
	v_add_f64_e64 v[213:214], v[14:15], -v[22:23]
	v_add_f64_e32 v[205:206], v[78:79], v[84:85]
	v_add_f64_e32 v[209:210], v[80:81], v[86:87]
	;; [unrolled: 1-line block ×5, first 2 shown]
	v_add_f64_e64 v[215:216], v[72:73], -v[64:65]
	v_mul_u32_u24_e32 v1, 0x1e0, v118
	v_add_f64_e32 v[100:101], v[108:109], v[229:230]
	s_wait_dscnt 0x1
	v_add_f64_e32 v[217:218], v[6:7], v[129:130]
	v_add_f64_e64 v[118:119], v[122:123], -v[129:130]
	v_fma_f64 v[94:95], v[94:95], -0.5, v[108:109]
	v_fma_f64 v[54:55], v[54:55], -0.5, v[108:109]
	;; [unrolled: 1-line block ×4, first 2 shown]
	v_add_f64_e64 v[108:109], v[42:43], -v[30:31]
	v_add_f64_e64 v[110:111], v[44:45], -v[56:57]
	v_fma_f64 v[195:196], v[195:196], -0.5, v[6:7]
	v_add_f64_e64 v[169:170], v[133:134], -v[165:166]
	v_add_f64_e64 v[175:176], v[14:15], -v[72:73]
	v_fma_f64 v[6:7], v[197:198], -0.5, v[6:7]
	v_fma_f64 v[197:198], v[199:200], -0.5, v[8:9]
	v_add_f64_e64 v[199:200], v[32:33], -v[24:25]
	v_add_f64_e64 v[179:180], v[16:17], -v[147:148]
	v_add_f64_e32 v[219:220], v[8:9], v[56:57]
	v_fma_f64 v[8:9], v[201:202], -0.5, v[8:9]
	v_add_f64_e64 v[201:202], v[46:47], -v[131:132]
	v_add_f64_e32 v[16:17], v[102:103], v[16:17]
	v_add_f64_e64 v[102:103], v[34:35], -v[26:27]
	v_add_f64_e32 v[104:105], v[104:105], v[133:134]
	;; [unrolled: 2-line block ×3, first 2 shown]
	v_add_f64_e64 v[106:107], v[28:29], -v[36:37]
	v_add_f64_e64 v[181:182], v[229:230], -v[173:174]
	v_add_f64_e32 v[223:224], v[60:61], v[52:53]
	v_add_f64_e32 v[229:230], v[38:39], v[74:75]
	;; [unrolled: 1-line block ×6, first 2 shown]
	s_wait_dscnt 0x0
	v_add_f64_e32 v[225:226], v[10:11], v[50:51]
	v_add_f64_e32 v[227:228], v[12:13], v[70:71]
	v_fma_f64 v[205:206], v[205:206], -0.5, v[10:11]
	v_fma_f64 v[10:11], v[207:208], -0.5, v[10:11]
	v_fma_f64 v[207:208], v[209:210], -0.5, v[12:13]
	v_fma_f64 v[12:13], v[211:212], -0.5, v[12:13]
	v_add_f64_e32 v[209:210], v[131:132], v[26:27]
	v_add_f64_e32 v[211:212], v[52:53], v[36:37]
	v_add_f64_e64 v[233:234], v[129:130], -v[122:123]
	v_add_f64_e64 v[235:236], v[30:31], -v[42:43]
	;; [unrolled: 1-line block ×9, first 2 shown]
	v_add_f64_e32 v[112:113], v[112:113], v[114:115]
	v_add_f64_e64 v[114:115], v[50:51], -v[78:79]
	v_add_f64_e32 v[124:125], v[124:125], v[137:138]
	v_add_f64_e64 v[137:138], v[90:91], -v[84:85]
	;; [unrolled: 2-line block ×4, first 2 shown]
	v_fma_f64 v[163:164], v[163:164], -0.5, v[245:246]
	v_fma_f64 v[22:23], v[22:23], -0.5, v[245:246]
	v_add_f64_e64 v[245:246], v[74:75], -v[62:63]
	v_add_f64_e32 v[183:184], v[183:184], v[185:186]
	v_add_f64_e64 v[185:186], v[18:19], -v[58:59]
	v_add_f64_e32 v[187:188], v[187:188], v[189:190]
	v_add_f64_e64 v[189:190], v[76:77], -v[82:83]
	v_fma_f64 v[161:162], v[161:162], -0.5, v[158:159]
	v_fma_f64 v[66:67], v[66:67], -0.5, v[158:159]
	v_add_f64_e64 v[158:159], v[20:21], -v[88:89]
	v_add_f64_e32 v[191:192], v[191:192], v[203:204]
	v_add_f64_e32 v[203:204], v[62:63], v[58:59]
	;; [unrolled: 1-line block ×10, first 2 shown]
	v_add_f64_e64 v[201:202], v[82:83], -v[76:77]
	v_add_f64_e32 v[106:107], v[133:134], v[106:107]
	v_add_f64_e64 v[133:134], v[88:89], -v[20:21]
	v_fma_f64 v[253:254], v[253:254], -0.5, v[60:61]
	v_fma_f64 v[251:252], v[251:252], -0.5, v[135:136]
	v_add_f64_e64 v[131:132], v[131:132], -v[26:27]
	v_add_f64_e64 v[52:53], v[52:53], -v[36:37]
	v_add_f64_e32 v[223:224], v[223:224], v[40:41]
	v_add_f64_e32 v[217:218], v[217:218], v[122:123]
	;; [unrolled: 1-line block ×4, first 2 shown]
	v_fma_f64 v[60:61], v[211:212], -0.5, v[60:61]
	v_fma_f64 v[135:136], v[209:210], -0.5, v[135:136]
	v_add_f64_e32 v[221:222], v[221:222], v[46:47]
	v_add_f64_e64 v[46:47], v[46:47], -v[34:35]
	v_add_f64_e64 v[40:41], v[40:41], -v[28:29]
	v_add_f64_e32 v[227:228], v[227:228], v[80:81]
	v_add_f64_e32 v[225:226], v[225:226], v[78:79]
	;; [unrolled: 1-line block ×3, first 2 shown]
	v_add_f64_e64 v[235:236], v[78:79], -v[50:51]
	v_add_f64_e32 v[237:238], v[237:238], v[239:240]
	v_add_f64_e64 v[239:240], v[84:85], -v[90:91]
	v_add_f64_e32 v[241:242], v[241:242], v[243:244]
	;; [unrolled: 2-line block ×3, first 2 shown]
	v_add_f64_e64 v[249:250], v[86:87], -v[92:93]
	v_add_f64_e64 v[211:212], v[62:63], -v[74:75]
	v_add_f64_e64 v[74:75], v[74:75], -v[18:19]
	v_add_f64_e64 v[76:77], v[76:77], -v[20:21]
	v_add_f64_e32 v[114:115], v[114:115], v[137:138]
	v_add_f64_e32 v[137:138], v[143:144], v[149:150]
	;; [unrolled: 1-line block ×4, first 2 shown]
	v_fma_f64 v[158:159], v[203:204], -0.5, v[38:39]
	v_fma_f64 v[185:186], v[215:216], -0.5, v[48:49]
	v_add_f64_e64 v[62:63], v[62:63], -v[58:59]
	v_add_f64_e64 v[82:83], v[82:83], -v[88:89]
	v_fma_f64 v[48:49], v[199:200], -0.5, v[48:49]
	v_fma_f64 v[38:39], v[118:119], -0.5, v[38:39]
	v_mul_u32_u24_e32 v0, 0x1e0, v126
	v_add_f64_e64 v[126:127], v[127:128], -v[141:142]
	v_add_f64_e32 v[100:101], v[100:101], v[141:142]
	v_add_f64_e32 v[14:15], v[14:15], v[72:73]
	v_fma_f64 v[72:73], v[167:168], s[16:17], v[163:164]
	v_fma_f64 v[141:142], v[171:172], s[12:13], v[161:162]
	v_add_f64_e32 v[133:134], v[201:202], v[133:134]
	v_add_f64_e32 v[16:17], v[16:17], v[147:148]
	;; [unrolled: 1-line block ×3, first 2 shown]
	v_fma_f64 v[147:148], v[177:178], s[12:13], v[54:55]
	v_fma_f64 v[165:166], v[181:182], s[16:17], v[96:97]
	;; [unrolled: 1-line block ×6, first 2 shown]
	v_add_f64_e64 v[209:210], v[58:59], -v[18:19]
	v_fma_f64 v[161:162], v[171:172], s[16:17], v[161:162]
	v_fma_f64 v[96:97], v[181:182], s[12:13], v[96:97]
	;; [unrolled: 1-line block ×3, first 2 shown]
	v_add_f64_e64 v[122:123], v[122:123], -v[42:43]
	v_add_f64_e32 v[42:43], v[217:218], v[42:43]
	v_add_f64_e32 v[28:29], v[223:224], v[28:29]
	;; [unrolled: 1-line block ×4, first 2 shown]
	v_fma_f64 v[215:216], v[131:132], s[16:17], v[253:254]
	v_fma_f64 v[217:218], v[52:53], s[12:13], v[251:252]
	v_add_f64_e64 v[80:81], v[80:81], -v[86:87]
	v_add_f64_e64 v[78:79], v[78:79], -v[84:85]
	v_add_f64_e32 v[34:35], v[221:222], v[34:35]
	v_add_f64_e32 v[84:85], v[225:226], v[84:85]
	;; [unrolled: 1-line block ×3, first 2 shown]
	v_fma_f64 v[223:224], v[46:47], s[12:13], v[60:61]
	v_fma_f64 v[225:226], v[40:41], s[16:17], v[135:136]
	v_add_f64_e32 v[219:220], v[219:220], v[44:45]
	v_fma_f64 v[135:136], v[40:41], s[12:13], v[135:136]
	v_fma_f64 v[60:61], v[46:47], s[16:17], v[60:61]
	v_add_f64_e32 v[189:190], v[235:236], v[239:240]
	v_fma_f64 v[231:232], v[52:53], s[16:17], v[251:252]
	v_fma_f64 v[235:236], v[131:132], s[12:13], v[253:254]
	v_add_f64_e64 v[56:57], v[56:57], -v[24:25]
	v_add_f64_e32 v[199:200], v[243:244], v[249:250]
	v_fma_f64 v[239:240], v[74:75], s[16:17], v[185:186]
	v_fma_f64 v[243:244], v[76:77], s[12:13], v[158:159]
	v_add_f64_e64 v[44:45], v[44:45], -v[32:33]
	v_fma_f64 v[251:252], v[62:63], s[12:13], v[48:49]
	v_fma_f64 v[253:254], v[82:83], s[16:17], v[38:39]
	;; [unrolled: 1-line block ×6, first 2 shown]
	v_add_f64_e32 v[14:15], v[14:15], v[64:65]
	v_fma_f64 v[64:65], v[169:170], s[20:21], v[72:73]
	v_fma_f64 v[72:73], v[175:176], s[14:15], v[141:142]
	v_add_f64_e32 v[104:105], v[104:105], v[193:194]
	v_fma_f64 v[141:142], v[179:180], s[14:15], v[147:148]
	v_fma_f64 v[147:148], v[126:127], s[20:21], v[165:166]
	;; [unrolled: 1-line block ×7, first 2 shown]
	v_add_f64_e32 v[118:119], v[211:212], v[209:210]
	v_fma_f64 v[211:212], v[126:127], s[12:13], v[98:99]
	v_fma_f64 v[98:99], v[126:127], s[16:17], v[98:99]
	;; [unrolled: 1-line block ×5, first 2 shown]
	v_add_f64_e64 v[128:129], v[129:130], -v[30:31]
	v_add_f64_e32 v[30:31], v[42:43], v[30:31]
	v_add_f64_e32 v[28:29], v[28:29], v[36:37]
	;; [unrolled: 1-line block ×4, first 2 shown]
	v_fma_f64 v[18:19], v[46:47], s[20:21], v[215:216]
	v_fma_f64 v[20:21], v[40:41], s[14:15], v[217:218]
	v_add_f64_e32 v[26:27], v[34:35], v[26:27]
	v_add_f64_e32 v[34:35], v[86:87], v[92:93]
	v_fma_f64 v[86:87], v[131:132], s[20:21], v[223:224]
	v_fma_f64 v[88:89], v[52:53], s[14:15], v[225:226]
	v_add_f64_e64 v[70:71], v[70:71], -v[92:93]
	v_add_f64_e32 v[32:33], v[219:220], v[32:33]
	v_fma_f64 v[52:53], v[52:53], s[20:21], v[135:136]
	v_fma_f64 v[60:61], v[131:132], s[14:15], v[60:61]
	v_add_f64_e64 v[50:51], v[50:51], -v[90:91]
	v_fma_f64 v[40:41], v[40:41], s[20:21], v[231:232]
	v_fma_f64 v[46:47], v[46:47], s[14:15], v[235:236]
	v_fma_f64 v[219:220], v[56:57], s[12:13], v[195:196]
	v_fma_f64 v[130:131], v[62:63], s[20:21], v[239:240]
	v_fma_f64 v[135:136], v[82:83], s[14:15], v[243:244]
	v_fma_f64 v[209:210], v[179:180], s[16:17], v[94:95]
	v_fma_f64 v[94:95], v[179:180], s[12:13], v[94:95]
	v_fma_f64 v[227:228], v[44:45], s[16:17], v[6:7]
	v_fma_f64 v[6:7], v[44:45], s[12:13], v[6:7]
	v_add_f64_e32 v[100:101], v[100:101], v[173:174]
	v_fma_f64 v[173:174], v[80:81], s[16:17], v[10:11]
	v_fma_f64 v[10:11], v[80:81], s[12:13], v[10:11]
	;; [unrolled: 1-line block ×20, first 2 shown]
	v_add_f64_e32 v[16:17], v[16:17], v[68:69]
	v_fma_f64 v[68:69], v[78:79], s[12:13], v[12:13]
	v_fma_f64 v[12:13], v[78:79], s[16:17], v[12:13]
	;; [unrolled: 1-line block ×7, first 2 shown]
	v_add_f64_e32 v[24:25], v[32:33], v[24:25]
	v_add_f64_e32 v[32:33], v[84:85], v[90:91]
	v_fma_f64 v[52:53], v[102:103], s[18:19], v[52:53]
	v_fma_f64 v[60:61], v[106:107], s[18:19], v[60:61]
	;; [unrolled: 1-line block ×17, first 2 shown]
	v_add_f64_e32 v[6:7], v[100:101], v[104:105]
	v_add_f64_e64 v[10:11], v[100:101], -v[104:105]
	v_fma_f64 v[100:101], v[112:113], s[18:19], v[141:142]
	v_fma_f64 v[104:105], v[124:125], s[18:19], v[147:148]
	;; [unrolled: 1-line block ×11, first 2 shown]
	v_mul_f64_e32 v[118:119], s[14:15], v[64:65]
	v_mul_f64_e32 v[132:133], s[20:21], v[72:73]
	;; [unrolled: 1-line block ×4, first 2 shown]
	v_fma_f64 v[112:113], v[112:113], s[18:19], v[54:55]
	v_fma_f64 v[96:97], v[124:125], s[18:19], v[96:97]
	v_mul_f64_e32 v[54:55], s[18:19], v[66:67]
	v_mul_f64_e32 v[124:125], s[18:19], v[165:166]
	;; [unrolled: 1-line block ×4, first 2 shown]
	v_fma_f64 v[84:85], v[122:123], s[20:21], v[221:222]
	v_fma_f64 v[92:93], v[128:129], s[20:21], v[229:230]
	v_fma_f64 v[128:129], v[128:129], s[14:15], v[8:9]
	v_fma_f64 v[68:69], v[50:51], s[20:21], v[68:69]
	v_fma_f64 v[50:51], v[50:51], s[14:15], v[12:13]
	v_add_f64_e32 v[8:9], v[16:17], v[14:15]
	v_add_f64_e64 v[12:13], v[16:17], -v[14:15]
	v_add_f64_e32 v[14:15], v[30:31], v[26:27]
	v_add_f64_e64 v[18:19], v[30:31], -v[26:27]
	v_mul_f64_e32 v[30:31], s[14:15], v[145:146]
	v_mul_f64_e32 v[173:174], s[20:21], v[161:162]
	;; [unrolled: 1-line block ×4, first 2 shown]
	v_fma_f64 v[163:164], v[80:81], s[14:15], v[245:246]
	v_add_f64_e32 v[16:17], v[24:25], v[28:29]
	v_add_f64_e64 v[20:21], v[24:25], -v[28:29]
	v_add_f64_e32 v[22:23], v[32:33], v[36:37]
	v_add_f64_e32 v[24:25], v[34:35], v[42:43]
	v_add_f64_e64 v[26:27], v[32:33], -v[36:37]
	v_add_f64_e64 v[28:29], v[34:35], -v[42:43]
	v_mul_f64_e32 v[32:33], s[18:19], v[52:53]
	v_mul_f64_e32 v[34:35], s[18:19], v[60:61]
	v_fma_f64 v[44:45], v[44:45], s[20:21], v[195:196]
	v_fma_f64 v[122:123], v[122:123], s[14:15], v[197:198]
	;; [unrolled: 1-line block ×3, first 2 shown]
	v_mul_f64_e32 v[36:37], s[22:23], v[40:41]
	v_mul_f64_e32 v[42:43], s[22:23], v[46:47]
	v_fma_f64 v[179:180], v[233:234], s[18:19], v[58:59]
	v_mul_f64_e32 v[58:59], s[14:15], v[130:131]
	v_mul_f64_e32 v[181:182], s[20:21], v[135:136]
	v_fma_f64 v[102:103], v[183:184], s[18:19], v[201:202]
	v_fma_f64 v[94:95], v[183:184], s[18:19], v[94:95]
	v_mul_f64_e32 v[183:184], s[12:13], v[141:142]
	v_mul_f64_e32 v[185:186], s[16:17], v[147:148]
	v_fma_f64 v[106:107], v[187:188], s[18:19], v[203:204]
	;; [unrolled: 4-line block ×4, first 2 shown]
	v_fma_f64 v[64:65], v[64:65], s[22:23], v[132:133]
	v_fma_f64 v[118:119], v[158:159], s[18:19], v[143:144]
	;; [unrolled: 1-line block ×5, first 2 shown]
	v_fma_f64 v[54:55], v[165:166], s[12:13], -v[54:55]
	v_fma_f64 v[56:57], v[66:67], s[16:17], -v[124:125]
	;; [unrolled: 1-line block ×4, first 2 shown]
	v_fma_f64 v[84:85], v[237:238], s[18:19], v[84:85]
	v_fma_f64 v[139:140], v[161:162], s[22:23], v[30:31]
	v_fma_f64 v[143:144], v[145:146], s[22:23], v[173:174]
	v_fma_f64 v[92:93], v[110:111], s[18:19], v[92:93]
	v_fma_f64 v[145:146], v[189:190], s[18:19], v[76:77]
	v_fma_f64 v[76:77], v[88:89], s[18:19], v[175:176]
	v_fma_f64 v[86:87], v[86:87], s[18:19], v[177:178]
	v_fma_f64 v[110:111], v[110:111], s[18:19], v[128:129]
	v_fma_f64 v[128:129], v[114:115], s[18:19], v[163:164]
	v_fma_f64 v[88:89], v[60:61], s[12:13], -v[32:33]
	v_fma_f64 v[163:164], v[52:53], s[16:17], -v[34:35]
	v_fma_f64 v[124:125], v[233:234], s[18:19], v[44:45]
	v_fma_f64 v[122:123], v[237:238], s[18:19], v[122:123]
	;; [unrolled: 1-line block ×3, first 2 shown]
	v_fma_f64 v[165:166], v[46:47], s[14:15], -v[36:37]
	v_fma_f64 v[167:168], v[40:41], s[20:21], -v[42:43]
	v_fma_f64 v[134:135], v[135:136], s[22:23], v[58:59]
	v_fma_f64 v[130:131], v[130:131], s[22:23], v[181:182]
	;; [unrolled: 1-line block ×7, first 2 shown]
	v_fma_f64 v[169:170], v[48:49], s[12:13], -v[187:188]
	v_fma_f64 v[171:172], v[38:39], s[16:17], -v[191:192]
	v_fma_f64 v[114:115], v[114:115], s[18:19], v[80:81]
	v_fma_f64 v[137:138], v[137:138], s[18:19], v[78:79]
	v_fma_f64 v[173:174], v[62:63], s[14:15], -v[193:194]
	v_fma_f64 v[175:176], v[74:75], s[20:21], -v[195:196]
	v_add_f64_e32 v[30:31], v[100:101], v[72:73]
	v_add_f64_e32 v[32:33], v[104:105], v[64:65]
	;; [unrolled: 1-line block ×4, first 2 shown]
	v_add_f64_e64 v[34:35], v[100:101], -v[72:73]
	v_add_f64_e32 v[46:47], v[94:95], v[54:55]
	v_add_f64_e32 v[48:49], v[98:99], v[56:57]
	v_add_f64_e64 v[50:51], v[94:95], -v[54:55]
	v_add_f64_e64 v[52:53], v[98:99], -v[56:57]
	v_add_f64_e32 v[54:55], v[112:113], v[66:67]
	v_add_f64_e32 v[56:57], v[96:97], v[126:127]
	v_add_f64_e64 v[36:37], v[104:105], -v[64:65]
	v_add_f64_e64 v[42:43], v[102:103], -v[118:119]
	;; [unrolled: 1-line block ×5, first 2 shown]
	v_add_f64_e32 v[62:63], v[179:180], v[139:140]
	v_add_f64_e32 v[64:65], v[84:85], v[143:144]
	;; [unrolled: 1-line block ×6, first 2 shown]
	v_add_f64_e64 v[74:75], v[90:91], -v[76:77]
	v_add_f64_e64 v[76:77], v[92:93], -v[86:87]
	;; [unrolled: 1-line block ×3, first 2 shown]
	v_add_f64_e32 v[86:87], v[124:125], v[165:166]
	v_add_f64_e32 v[88:89], v[122:123], v[167:168]
	v_add_f64_e64 v[66:67], v[179:180], -v[139:140]
	v_add_f64_e64 v[68:69], v[84:85], -v[143:144]
	v_add_f64_e64 v[84:85], v[110:111], -v[163:164]
	v_add_f64_e64 v[90:91], v[124:125], -v[165:166]
	v_add_f64_e64 v[92:93], v[122:123], -v[167:168]
	v_add_f64_e32 v[94:95], v[128:129], v[134:135]
	v_add_f64_e32 v[96:97], v[132:133], v[130:131]
	;; [unrolled: 1-line block ×8, first 2 shown]
	v_add_f64_e64 v[98:99], v[128:129], -v[134:135]
	v_add_f64_e64 v[100:101], v[132:133], -v[130:131]
	;; [unrolled: 1-line block ×4, first 2 shown]
	v_mul_u32_u24_e32 v5, 9, v153
	v_add_f64_e64 v[126:127], v[158:159], -v[169:170]
	v_add_f64_e64 v[128:129], v[161:162], -v[171:172]
	;; [unrolled: 1-line block ×4, first 2 shown]
	v_lshlrev_b32_e32 v114, 4, v5
	v_add3_u32 v1, 0, v1, v3
	v_add3_u32 v0, 0, v0, v4
	global_wb scope:SCOPE_SE
	s_wait_storecnt 0x0
	s_barrier_signal -1
	s_barrier_wait -1
	global_inv scope:SCOPE_SE
	ds_store_b128 v2, v[6:9]
	ds_store_b128 v2, v[30:33] offset:48
	ds_store_b128 v2, v[38:41] offset:96
	ds_store_b128 v2, v[46:49] offset:144
	ds_store_b128 v2, v[54:57] offset:192
	ds_store_b128 v2, v[10:13] offset:240
	ds_store_b128 v2, v[34:37] offset:288
	ds_store_b128 v2, v[42:45] offset:336
	ds_store_b128 v2, v[50:53] offset:384
	ds_store_b128 v2, v[58:61] offset:432
	ds_store_b128 v1, v[14:17]
	ds_store_b128 v1, v[62:65] offset:48
	ds_store_b128 v1, v[70:73] offset:96
	ds_store_b128 v1, v[78:81] offset:144
	ds_store_b128 v1, v[86:89] offset:192
	ds_store_b128 v1, v[18:21] offset:240
	ds_store_b128 v1, v[66:69] offset:288
	ds_store_b128 v1, v[74:77] offset:336
	ds_store_b128 v1, v[82:85] offset:384
	ds_store_b128 v1, v[90:93] offset:432
	ds_store_b128 v0, v[22:25]
	ds_store_b128 v0, v[94:97] offset:48
	ds_store_b128 v0, v[102:105] offset:96
	ds_store_b128 v0, v[110:113] offset:144
	ds_store_b128 v0, v[122:125] offset:192
	ds_store_b128 v0, v[26:29] offset:240
	ds_store_b128 v0, v[98:101] offset:288
	ds_store_b128 v0, v[106:109] offset:336
	ds_store_b128 v0, v[126:129] offset:384
	ds_store_b128 v0, v[130:133] offset:432
	global_wb scope:SCOPE_SE
	s_wait_dscnt 0x0
	s_barrier_signal -1
	s_barrier_wait -1
	global_inv scope:SCOPE_SE
	s_clause 0x6
	global_load_b128 v[8:11], v114, s[8:9] offset:432
	global_load_b128 v[4:7], v114, s[8:9] offset:448
	global_load_b128 v[0:3], v114, s[8:9] offset:464
	global_load_b128 v[32:35], v114, s[8:9] offset:480
	global_load_b128 v[28:31], v114, s[8:9] offset:496
	global_load_b128 v[24:27], v114, s[8:9] offset:512
	global_load_b128 v[20:23], v114, s[8:9] offset:528
	v_mul_lo_u16 v12, 0x89, v120
	global_load_b128 v[16:19], v114, s[8:9] offset:544
	v_mul_u32_u24_e32 v41, 0x8889, v121
	v_subrev_nc_u32_e32 v129, 30, v152
	v_lshlrev_b32_e32 v149, 1, v151
	v_lshrrev_b16 v109, 12, v12
	v_lshlrev_b32_e32 v158, 1, v152
	v_lshrrev_b32_e32 v111, 20, v41
	v_mov_b32_e32 v159, 0
	v_add_nc_u32_e32 v113, 0x32a, v152
	v_mul_lo_u16 v12, v109, 30
	v_lshlrev_b32_e32 v181, 1, v117
	v_mul_lo_u16 v41, v111, 30
	v_dual_mov_b32 v182, v159 :: v_dual_add_nc_u32 v189, 0x78, v158
	s_delay_alu instid0(VALU_DEP_4) | instskip(SKIP_1) | instid1(VALU_DEP_4)
	v_sub_nc_u16 v12, v151, v12
	v_mov_b32_e32 v190, v159
	v_sub_nc_u16 v41, v117, v41
	v_dual_mov_b32 v194, v159 :: v_dual_add_nc_u32 v193, 0x12c, v158
	s_delay_alu instid0(VALU_DEP_4)
	v_and_b32_e32 v108, 0xff, v12
	global_load_b128 v[12:15], v114, s[8:9] offset:560
	v_and_b32_e32 v110, 0xffff, v41
	v_add_nc_u32_e32 v114, 0x10e, v152
	v_lshrrev_b16 v244, 2, v113
	v_mul_u32_u24_e32 v36, 9, v108
	v_add_nc_u32_e32 v120, 0x21c, v152
	v_mul_u32_u24_e32 v41, 9, v110
	s_wait_alu 0xf1ff
	v_cndmask_b32_e64 v151, v129, v114, s0
	v_mov_b32_e32 v114, v113
	v_lshlrev_b32_e32 v40, 4, v36
	v_lshlrev_b64_e32 v[112:113], 4, v[189:190]
	v_lshlrev_b32_e32 v104, 4, v41
	v_lshlrev_b64_e32 v[118:119], 4, v[158:159]
	v_lshrrev_b16 v117, 2, v120
	s_clause 0x11
	global_load_b128 v[36:39], v40, s[8:9] offset:432
	global_load_b128 v[72:75], v40, s[8:9] offset:448
	;; [unrolled: 1-line block ×18, first 2 shown]
	ds_load_b128 v[129:132], v160 offset:12960
	ds_load_b128 v[133:136], v160 offset:17280
	scratch_store_b32 off, v151, off offset:4 ; 4-byte Folded Spill
	ds_load_b128 v[121:124], v160 offset:4320
	ds_load_b128 v[125:128], v160 offset:8640
	;; [unrolled: 1-line block ×10, first 2 shown]
	v_lshrrev_b16 v205, 2, v116
	v_and_b32_e32 v251, 0xffff, v117
	v_add_nc_u32_e32 v115, 0x2d0, v152
	v_and_b32_e32 v254, 0xffff, v244
	v_mov_b32_e32 v150, v159
	v_and_b32_e32 v252, 0xffff, v205
	v_lshlrev_b32_e32 v209, 1, v151
	v_lshrrev_b16 v243, 2, v115
	v_mul_u32_u24_e32 v151, 0x6d3b, v251
	v_lshlrev_b64_e32 v[149:150], 4, v[149:150]
	v_mul_u32_u24_e32 v251, 0x6d3b, v252
	v_and_b32_e32 v109, 0xffff, v109
	v_and_b32_e32 v253, 0xffff, v243
	v_dual_mov_b32 v210, v159 :: v_dual_lshlrev_b32 v153, 4, v153
	s_delay_alu instid0(VALU_DEP_3) | instskip(NEXT) | instid1(VALU_DEP_3)
	v_mul_u32_u24_e32 v255, 0x12c0, v109
	v_mul_u32_u24_e32 v252, 0x6d3b, v253
	;; [unrolled: 1-line block ×4, first 2 shown]
	v_lshlrev_b64_e32 v[209:210], 4, v[209:210]
	s_wait_loadcnt_dscnt 0x1a09
	v_mul_f64_e32 v[211:212], v[123:124], v[10:11]
	s_wait_loadcnt_dscnt 0x1908
	v_mul_f64_e32 v[215:216], v[127:128], v[6:7]
	s_wait_loadcnt 0x18
	v_mul_f64_e32 v[219:220], v[131:132], v[2:3]
	v_mul_f64_e32 v[221:222], v[129:130], v[2:3]
	s_wait_loadcnt 0x17
	v_mul_f64_e32 v[223:224], v[135:136], v[34:35]
	v_mul_f64_e32 v[34:35], v[133:134], v[34:35]
	;; [unrolled: 1-line block ×3, first 2 shown]
	s_wait_loadcnt_dscnt 0x1504
	v_mul_f64_e32 v[229:230], v[163:164], v[26:27]
	v_mul_f64_e32 v[213:214], v[121:122], v[10:11]
	v_lshlrev_b64_e32 v[10:11], 4, v[181:182]
	ds_load_b128 v[181:184], v160 offset:38880
	ds_load_b128 v[185:188], v160 offset:23040
	v_mul_f64_e32 v[225:226], v[143:144], v[30:31]
	v_mul_f64_e32 v[227:228], v[141:142], v[30:31]
	ds_load_b128 v[189:192], v160 offset:24480
	v_lshlrev_b64_e32 v[6:7], 4, v[193:194]
	ds_load_b128 v[193:196], v160 offset:31680
	ds_load_b128 v[197:200], v160 offset:10080
	v_mul_f64_e32 v[231:232], v[161:162], v[26:27]
	s_wait_loadcnt_dscnt 0x1407
	v_mul_f64_e32 v[233:234], v[171:172], v[22:23]
	v_mul_f64_e32 v[235:236], v[169:170], v[22:23]
	s_wait_loadcnt_dscnt 0x1306
	v_mul_f64_e32 v[237:238], v[175:176], v[18:19]
	v_mul_f64_e32 v[18:19], v[173:174], v[18:19]
	ds_load_b128 v[201:204], v160 offset:33120
	ds_load_b128 v[205:208], v160 offset:40320
	v_lshlrev_b32_e32 v3, 4, v110
	s_wait_loadcnt_dscnt 0x1206
	v_mul_f64_e32 v[239:240], v[183:184], v[14:15]
	v_fma_f64 v[211:212], v[121:122], v[8:9], -v[211:212]
	v_fma_f64 v[215:216], v[125:126], v[4:5], -v[215:216]
	;; [unrolled: 1-line block ×3, first 2 shown]
	v_fma_f64 v[0:1], v[131:132], v[0:1], v[221:222]
	ds_load_b128 v[129:132], v160 offset:20160
	v_fma_f64 v[223:224], v[133:134], v[32:33], -v[223:224]
	v_fma_f64 v[241:242], v[135:136], v[32:33], v[34:35]
	ds_load_b128 v[30:33], v160 offset:27360
	v_fma_f64 v[4:5], v[127:128], v[4:5], v[217:218]
	s_wait_loadcnt 0x11
	v_mul_f64_e32 v[217:218], v[139:140], v[38:39]
	v_mul_f64_e32 v[38:39], v[137:138], v[38:39]
	s_wait_loadcnt_dscnt 0x1004
	v_mul_f64_e32 v[221:222], v[199:200], v[74:75]
	s_wait_loadcnt 0xf
	v_mul_f64_e32 v[34:35], v[167:168], v[70:71]
	v_fma_f64 v[161:162], v[161:162], v[24:25], -v[229:230]
	v_fma_f64 v[8:9], v[123:124], v[8:9], v[213:214]
	v_mul_f64_e32 v[213:214], v[181:182], v[14:15]
	ds_load_b128 v[121:124], v160 offset:18720
	ds_load_b128 v[125:128], v160 offset:11520
	v_mul_f64_e32 v[74:75], v[197:198], v[74:75]
	v_mul_f64_e32 v[70:71], v[165:166], v[70:71]
	v_fma_f64 v[141:142], v[141:142], v[28:29], -v[225:226]
	v_fma_f64 v[143:144], v[143:144], v[28:29], v[227:228]
	ds_load_b128 v[26:29], v160 offset:28800
	ds_load_b128 v[133:136], v160 offset:36000
	v_fma_f64 v[163:164], v[163:164], v[24:25], v[231:232]
	ds_load_b128 v[22:25], v160 offset:37440
	v_fma_f64 v[169:170], v[169:170], v[20:21], -v[233:234]
	v_fma_f64 v[171:172], v[171:172], v[20:21], v[235:236]
	s_wait_loadcnt_dscnt 0xc05
	v_mul_f64_e32 v[229:230], v[32:33], v[54:55]
	v_mul_f64_e32 v[54:55], v[30:31], v[54:55]
	v_fma_f64 v[173:174], v[173:174], v[16:17], -v[237:238]
	v_fma_f64 v[175:176], v[175:176], v[16:17], v[18:19]
	ds_load_b128 v[14:17], v160 offset:41760
	ds_load_b128 v[18:21], v160
	s_wait_loadcnt 0x5
	v_mul_f64_e32 v[233:234], v[129:130], v[86:87]
	v_mul_f64_e32 v[227:228], v[187:188], v[62:63]
	;; [unrolled: 1-line block ×4, first 2 shown]
	s_wait_dscnt 0x6
	v_mul_f64_e32 v[225:226], v[123:124], v[66:67]
	v_mul_f64_e32 v[66:67], v[121:122], v[66:67]
	v_fma_f64 v[181:182], v[181:182], v[12:13], -v[239:240]
	v_mul_f64_e32 v[50:51], v[193:194], v[50:51]
	v_fma_f64 v[137:138], v[137:138], v[36:37], -v[217:218]
	v_fma_f64 v[38:39], v[139:140], v[36:37], v[38:39]
	v_fma_f64 v[197:198], v[197:198], v[72:73], -v[221:222]
	v_mul_f64_e32 v[221:222], v[131:132], v[86:87]
	v_fma_f64 v[165:166], v[165:166], v[68:69], -v[34:35]
	v_add_co_u32 v86, s0, s8, v118
	s_wait_dscnt 0x5
	v_mul_f64_e32 v[217:218], v[127:128], v[82:83]
	v_fma_f64 v[12:13], v[183:184], v[12:13], v[213:214]
	v_fma_f64 v[72:73], v[199:200], v[72:73], v[74:75]
	v_mul_f64_e32 v[74:75], v[125:126], v[82:83]
	v_fma_f64 v[68:69], v[167:168], v[68:69], v[70:71]
	s_wait_loadcnt_dscnt 0x404
	v_mul_f64_e32 v[70:71], v[28:29], v[90:91]
	s_wait_loadcnt_dscnt 0x302
	v_mul_f64_e32 v[167:168], v[24:25], v[102:103]
	v_mul_f64_e32 v[90:91], v[26:27], v[90:91]
	;; [unrolled: 1-line block ×5, first 2 shown]
	v_fma_f64 v[117:118], v[30:31], v[52:53], -v[229:230]
	v_fma_f64 v[52:53], v[32:33], v[52:53], v[54:55]
	ds_load_b128 v[30:33], v160 offset:1440
	ds_load_b128 v[34:37], v160 offset:2880
	scratch_load_b32 v2, off, off th:TH_LOAD_LU ; 4-byte Folded Reload
	v_mul_f64_e32 v[213:214], v[207:208], v[42:43]
	v_mul_f64_e32 v[42:43], v[205:206], v[42:43]
	;; [unrolled: 1-line block ×5, first 2 shown]
	v_fma_f64 v[121:122], v[121:122], v[64:65], -v[225:226]
	v_fma_f64 v[64:65], v[123:124], v[64:65], v[66:67]
	v_mul_f64_e32 v[66:67], v[177:178], v[78:79]
	s_wait_loadcnt 0x3
	v_mul_f64_e32 v[78:79], v[191:192], v[98:99]
	v_mul_f64_e32 v[98:99], v[189:190], v[98:99]
	s_wait_loadcnt 0x2
	v_mul_f64_e32 v[123:124], v[203:204], v[94:95]
	v_fma_f64 v[185:186], v[185:186], v[60:61], -v[227:228]
	v_fma_f64 v[60:61], v[187:188], v[60:61], v[62:63]
	v_mul_f64_e32 v[62:63], v[201:202], v[94:95]
	s_wait_loadcnt_dscnt 0x103
	v_mul_f64_e32 v[94:95], v[16:17], v[106:107]
	v_mul_f64_e32 v[106:107], v[14:15], v[106:107]
	v_fma_f64 v[54:55], v[193:194], v[48:49], -v[231:232]
	v_fma_f64 v[48:49], v[195:196], v[48:49], v[50:51]
	v_add_f64_e64 v[193:194], v[141:142], -v[219:220]
	v_add_f64_e32 v[195:196], v[219:220], v[181:182]
	s_wait_alu 0xf1ff
	v_add_co_ci_u32_e64 v87, s0, s9, v119, s0
	v_add_co_u32 v82, s0, s8, v149
	v_fma_f64 v[125:126], v[125:126], v[80:81], -v[217:218]
	s_wait_alu 0xf1ff
	v_add_co_ci_u32_e64 v83, s0, s9, v150, s0
	v_fma_f64 v[74:75], v[127:128], v[80:81], v[74:75]
	v_fma_f64 v[80:81], v[129:130], v[84:85], -v[221:222]
	v_fma_f64 v[84:85], v[131:132], v[84:85], v[233:234]
	v_fma_f64 v[26:27], v[26:27], v[88:89], -v[70:71]
	v_fma_f64 v[22:23], v[22:23], v[100:101], -v[167:168]
	v_fma_f64 v[28:29], v[28:29], v[88:89], v[90:91]
	v_fma_f64 v[24:25], v[24:25], v[100:101], v[102:103]
	v_fma_f64 v[50:51], v[133:134], v[44:45], -v[183:184]
	v_fma_f64 v[44:45], v[135:136], v[44:45], v[46:47]
	v_add_f64_e64 v[100:101], v[215:216], -v[223:224]
	v_add_f64_e64 v[102:103], v[173:174], -v[161:162]
	v_fma_f64 v[46:47], v[205:206], v[40:41], -v[213:214]
	v_fma_f64 v[40:41], v[207:208], v[40:41], v[42:43]
	v_fma_f64 v[42:43], v[145:146], v[56:57], -v[139:140]
	v_fma_f64 v[56:57], v[147:148], v[56:57], v[58:59]
	v_fma_f64 v[58:59], v[177:178], v[76:77], -v[199:200]
	v_add_f64_e64 v[129:130], v[0:1], -v[143:144]
	v_add_f64_e64 v[131:132], v[12:13], -v[171:172]
	v_fma_f64 v[66:67], v[179:180], v[76:77], v[66:67]
	v_fma_f64 v[70:71], v[189:190], v[96:97], -v[78:79]
	v_fma_f64 v[76:77], v[191:192], v[96:97], v[98:99]
	v_fma_f64 v[78:79], v[201:202], v[92:93], -v[123:124]
	v_add_f64_e64 v[123:124], v[219:220], -v[141:142]
	v_add_f64_e64 v[127:128], v[181:182], -v[169:170]
	v_fma_f64 v[62:63], v[203:204], v[92:93], v[62:63]
	v_fma_f64 v[14:15], v[14:15], v[104:105], -v[94:95]
	v_fma_f64 v[16:17], v[16:17], v[104:105], v[106:107]
	v_add_f64_e64 v[104:105], v[4:5], -v[241:242]
	v_add_f64_e64 v[106:107], v[175:176], -v[163:164]
	;; [unrolled: 1-line block ×10, first 2 shown]
	v_add_f64_e32 v[133:134], v[141:142], v[169:170]
	s_wait_dscnt 0x0
	v_add_f64_e32 v[213:214], v[34:35], v[125:126]
	v_add_f64_e64 v[225:226], v[72:73], -v[64:65]
	v_add_f64_e64 v[229:230], v[165:166], -v[185:186]
	v_add_f64_e32 v[183:184], v[80:81], v[26:27]
	v_add_f64_e32 v[187:188], v[125:126], v[22:23]
	;; [unrolled: 1-line block ×4, first 2 shown]
	v_add_f64_e64 v[221:222], v[50:51], -v[117:118]
	v_add_f64_e64 v[227:228], v[44:45], -v[52:53]
	;; [unrolled: 1-line block ×3, first 2 shown]
	v_add_f64_e32 v[100:101], v[100:101], v[102:103]
	v_add_f64_e64 v[231:232], v[46:47], -v[54:55]
	v_add_f64_e32 v[102:103], v[0:1], v[12:13]
	v_add_f64_e64 v[239:240], v[117:118], -v[50:51]
	v_add_f64_e64 v[243:244], v[64:65], -v[72:73]
	v_add_f64_e64 v[245:246], v[52:53], -v[44:45]
	v_add_f64_e32 v[96:97], v[18:19], v[215:216]
	v_add_f64_e32 v[98:99], v[20:21], v[4:5]
	v_add_f64_e32 v[129:130], v[129:130], v[131:132]
	v_add_f64_e32 v[131:132], v[165:166], v[46:47]
	v_add_f64_e32 v[88:89], v[223:224], v[161:162]
	v_add_f64_e32 v[90:91], v[215:216], v[173:174]
	v_add_f64_e32 v[92:93], v[241:242], v[163:164]
	v_add_f64_e32 v[94:95], v[4:5], v[175:176]
	v_add_f64_e32 v[145:146], v[121:122], v[117:118]
	v_add_f64_e32 v[147:148], v[197:198], v[50:51]
	v_add_f64_e32 v[149:150], v[64:65], v[52:53]
	v_add_f64_e32 v[167:168], v[72:73], v[44:45]
	v_add_f64_e32 v[104:105], v[104:105], v[106:107]
	v_add_f64_e32 v[106:107], v[185:186], v[54:55]
	v_add_f64_e32 v[123:124], v[123:124], v[127:128]
	v_add_f64_e32 v[127:128], v[60:61], v[48:49]
	v_add_f64_e32 v[135:136], v[135:136], v[139:140]
	v_add_f64_e32 v[139:140], v[68:69], v[40:41]
	v_add_f64_e32 v[177:178], v[177:178], v[179:180]
	v_add_f64_e64 v[179:180], v[74:75], -v[84:85]
	v_add_f64_e32 v[193:194], v[193:194], v[199:200]
	v_add_f64_e64 v[199:200], v[24:25], -v[28:29]
	v_add_f64_e32 v[201:202], v[201:202], v[203:204]
	v_add_f64_e64 v[203:204], v[58:59], -v[70:71]
	v_fma_f64 v[133:134], v[133:134], -0.5, v[211:212]
	v_fma_f64 v[183:184], v[183:184], -0.5, v[34:35]
	;; [unrolled: 1-line block ×5, first 2 shown]
	v_add_f64_e32 v[191:192], v[143:144], v[171:172]
	v_add_f64_e32 v[217:218], v[217:218], v[221:222]
	v_add_f64_e64 v[221:222], v[14:15], -v[78:79]
	v_fma_f64 v[195:196], v[195:196], -0.5, v[211:212]
	v_add_f64_e32 v[211:212], v[211:212], v[219:220]
	v_add_f64_e32 v[205:206], v[30:31], v[197:198]
	v_add_f64_e64 v[233:234], v[68:69], -v[60:61]
	v_add_f64_e64 v[235:236], v[40:41], -v[48:49]
	;; [unrolled: 1-line block ×4, first 2 shown]
	v_add_f64_e32 v[225:226], v[225:226], v[227:228]
	v_add_f64_e64 v[227:228], v[66:67], -v[76:77]
	v_add_f64_e32 v[229:230], v[229:230], v[231:232]
	v_add_f64_e64 v[231:232], v[16:17], -v[62:63]
	v_fma_f64 v[102:103], v[102:103], -0.5, v[8:9]
	v_add_f64_e32 v[237:238], v[237:238], v[239:240]
	v_add_f64_e64 v[239:240], v[80:81], -v[125:126]
	v_add_f64_e32 v[243:244], v[243:244], v[245:246]
	v_add_f64_e64 v[245:246], v[26:27], -v[22:23]
	v_add_f64_e32 v[96:97], v[96:97], v[223:224]
	v_add_f64_e32 v[98:99], v[98:99], v[241:242]
	v_fma_f64 v[131:132], v[131:132], -0.5, v[137:138]
	v_fma_f64 v[106:107], v[106:107], -0.5, v[137:138]
	v_add_f64_e32 v[137:138], v[137:138], v[165:166]
	v_add_f64_e32 v[207:208], v[32:33], v[72:73]
	v_fma_f64 v[88:89], v[88:89], -0.5, v[18:19]
	v_fma_f64 v[18:19], v[90:91], -0.5, v[18:19]
	;; [unrolled: 1-line block ×4, first 2 shown]
	v_add_f64_e64 v[92:93], v[60:61], -v[68:69]
	v_add_f64_e64 v[94:95], v[48:49], -v[40:41]
	v_fma_f64 v[145:146], v[145:146], -0.5, v[30:31]
	v_fma_f64 v[30:31], v[147:148], -0.5, v[30:31]
	;; [unrolled: 1-line block ×4, first 2 shown]
	v_add_f64_e64 v[149:150], v[125:126], -v[80:81]
	v_add_f64_e64 v[167:168], v[22:23], -v[26:27]
	v_add_f64_e32 v[36:37], v[36:37], v[74:75]
	v_fma_f64 v[191:192], v[191:192], -0.5, v[8:9]
	v_add_f64_e32 v[8:9], v[8:9], v[0:1]
	v_fma_f64 v[127:128], v[127:128], -0.5, v[38:39]
	v_fma_f64 v[139:140], v[139:140], -0.5, v[38:39]
	v_add_f64_e32 v[38:39], v[38:39], v[68:69]
	v_add_f64_e32 v[179:180], v[179:180], v[199:200]
	;; [unrolled: 1-line block ×10, first 2 shown]
	v_add_f64_e64 v[241:242], v[241:242], -v[163:164]
	v_add_f64_e32 v[227:228], v[227:228], v[231:232]
	v_add_f64_e32 v[231:232], v[70:71], v[78:79]
	;; [unrolled: 1-line block ×5, first 2 shown]
	v_add_f64_e64 v[0:1], v[0:1], -v[12:13]
	v_add_f64_e64 v[141:142], v[141:142], -v[169:170]
	v_add_f64_e64 v[223:224], v[223:224], -v[161:162]
	v_add_f64_e32 v[96:97], v[96:97], v[161:162]
	v_add_f64_e64 v[161:162], v[76:77], -v[66:67]
	v_add_f64_e32 v[98:99], v[98:99], v[163:164]
	v_add_f64_e64 v[163:164], v[62:63], -v[16:17]
	v_add_f64_e64 v[219:220], v[219:220], -v[181:182]
	;; [unrolled: 1-line block ×3, first 2 shown]
	v_add_f64_e32 v[137:138], v[137:138], v[185:186]
	v_add_f64_e32 v[92:93], v[92:93], v[94:95]
	v_add_f64_e64 v[94:95], v[84:85], -v[74:75]
	v_add_f64_e64 v[68:69], v[68:69], -v[40:41]
	;; [unrolled: 1-line block ×5, first 2 shown]
	v_add_f64_e32 v[149:150], v[149:150], v[167:168]
	v_add_f64_e64 v[167:168], v[28:29], -v[24:25]
	v_add_f64_e32 v[36:37], v[36:37], v[84:85]
	v_add_f64_e32 v[8:9], v[8:9], v[143:144]
	v_add_f64_e64 v[143:144], v[165:166], -v[46:47]
	v_add_f64_e64 v[165:166], v[185:186], -v[54:55]
	v_add_f64_e32 v[38:39], v[38:39], v[60:61]
	v_add_f64_e64 v[185:186], v[197:198], -v[50:51]
	v_add_f64_e32 v[197:198], v[213:214], v[80:81]
	v_add_f64_e32 v[199:200], v[199:200], v[70:71]
	v_add_f64_e64 v[60:61], v[60:61], -v[48:49]
	v_add_f64_e32 v[169:170], v[211:212], v[169:170]
	v_add_f64_e64 v[66:67], v[66:67], -v[16:17]
	v_fma_f64 v[235:236], v[235:236], -0.5, v[56:57]
	v_add_f64_e64 v[215:216], v[215:216], -v[173:174]
	v_fma_f64 v[56:57], v[249:250], -0.5, v[56:57]
	v_add_f64_e64 v[249:250], v[70:71], -v[58:59]
	v_add_f64_e64 v[58:59], v[58:59], -v[14:15]
	v_fma_f64 v[213:214], v[231:232], -0.5, v[42:43]
	v_add_f64_e32 v[117:118], v[205:206], v[117:118]
	v_fma_f64 v[205:206], v[241:242], s[16:17], v[18:19]
	v_fma_f64 v[18:19], v[241:242], s[12:13], v[18:19]
	v_add_f64_e64 v[70:71], v[70:71], -v[78:79]
	v_fma_f64 v[42:43], v[245:246], -0.5, v[42:43]
	v_fma_f64 v[231:232], v[141:142], s[12:13], v[102:103]
	v_fma_f64 v[102:103], v[141:142], s[16:17], v[102:103]
	v_add_f64_e64 v[84:85], v[84:85], -v[28:29]
	v_add_f64_e64 v[80:81], v[80:81], -v[26:27]
	v_add_f64_e32 v[161:162], v[161:162], v[163:164]
	v_fma_f64 v[163:164], v[219:220], s[16:17], v[191:192]
	v_fma_f64 v[191:192], v[219:220], s[12:13], v[191:192]
	v_add_f64_e32 v[54:55], v[137:138], v[54:55]
	v_fma_f64 v[137:138], v[110:111], s[16:17], v[195:196]
	v_fma_f64 v[195:196], v[110:111], s[12:13], v[195:196]
	v_add_f64_e32 v[96:97], v[96:97], v[173:174]
	v_add_f64_e32 v[98:99], v[98:99], v[175:176]
	v_fma_f64 v[211:212], v[4:5], s[12:13], v[88:89]
	v_fma_f64 v[88:89], v[4:5], s[16:17], v[88:89]
	v_add_f64_e64 v[74:75], v[74:75], -v[24:25]
	v_add_f64_e32 v[94:95], v[94:95], v[167:168]
	v_add_f64_e64 v[167:168], v[78:79], -v[14:15]
	v_add_f64_e32 v[8:9], v[8:9], v[171:172]
	v_fma_f64 v[171:172], v[0:1], s[12:13], v[133:134]
	v_fma_f64 v[133:134], v[0:1], s[16:17], v[133:134]
	v_add_f64_e32 v[38:39], v[38:39], v[48:49]
	v_add_f64_e32 v[28:29], v[36:37], v[28:29]
	;; [unrolled: 1-line block ×4, first 2 shown]
	v_fma_f64 v[78:79], v[68:69], s[12:13], v[106:107]
	v_fma_f64 v[173:174], v[60:61], s[16:17], v[131:132]
	;; [unrolled: 1-line block ×3, first 2 shown]
	v_add_f64_e32 v[169:170], v[169:170], v[181:182]
	v_fma_f64 v[181:182], v[121:122], s[12:13], v[32:33]
	v_fma_f64 v[32:33], v[121:122], s[16:17], v[32:33]
	;; [unrolled: 1-line block ×17, first 2 shown]
	v_add_f64_e64 v[125:126], v[125:126], -v[22:23]
	v_fma_f64 v[137:138], v[0:1], s[14:15], v[137:138]
	v_fma_f64 v[0:1], v[0:1], s[20:21], v[195:196]
	v_add_f64_e32 v[46:47], v[54:55], v[46:47]
	v_add_f64_e32 v[50:51], v[117:118], v[50:51]
	v_fma_f64 v[211:212], v[241:242], s[14:15], v[211:212]
	v_fma_f64 v[88:89], v[241:242], s[20:21], v[88:89]
	v_fma_f64 v[241:242], v[84:85], s[16:17], v[34:35]
	v_fma_f64 v[34:35], v[84:85], s[12:13], v[34:35]
	v_add_f64_e32 v[167:168], v[249:250], v[167:168]
	v_add_f64_e32 v[8:9], v[8:9], v[12:13]
	v_fma_f64 v[12:13], v[58:59], s[16:17], v[235:236]
	v_fma_f64 v[171:172], v[110:111], s[14:15], v[171:172]
	v_fma_f64 v[110:111], v[110:111], s[20:21], v[133:134]
	v_fma_f64 v[235:236], v[58:59], s[12:13], v[235:236]
	v_add_f64_e32 v[38:39], v[38:39], v[40:41]
	v_add_f64_e32 v[40:41], v[26:27], v[22:23]
	v_fma_f64 v[22:23], v[60:61], s[14:15], v[78:79]
	v_fma_f64 v[26:27], v[68:69], s[14:15], v[173:174]
	v_add_f64_e32 v[36:37], v[36:37], v[14:15]
	global_wb scope:SCOPE_SE
	s_wait_loadcnt 0x0
	s_wait_storecnt 0x0
	v_fma_f64 v[117:118], v[185:186], s[20:21], v[181:182]
	v_fma_f64 v[173:174], v[185:186], s[14:15], v[32:33]
	;; [unrolled: 1-line block ×3, first 2 shown]
	s_barrier_signal -1
	s_barrier_wait -1
	global_inv scope:SCOPE_SE
	v_dual_mov_b32 v250, v115 :: v_dual_mov_b32 v249, v114
	v_fma_f64 v[4:5], v[135:136], s[18:19], v[4:5]
	v_fma_f64 v[102:103], v[201:202], s[18:19], v[102:103]
	;; [unrolled: 1-line block ×8, first 2 shown]
	v_add_f64_e32 v[14:15], v[98:99], v[8:9]
	v_fma_f64 v[106:107], v[70:71], s[20:21], v[12:13]
	v_add_f64_e32 v[12:13], v[96:97], v[169:170]
	v_fma_f64 v[110:111], v[123:124], s[18:19], v[110:111]
	v_fma_f64 v[117:118], v[243:244], s[18:19], v[117:118]
	v_and_b32_e32 v119, 0xffff, v2
	v_lshlrev_b32_e32 v2, 4, v108
	v_add_f64_e32 v[108:109], v[207:208], v[64:65]
	v_add_f64_e32 v[207:208], v[221:222], v[76:77]
	v_add_f64_e64 v[64:65], v[64:65], -v[52:53]
	v_add_f64_e64 v[76:77], v[76:77], -v[62:63]
	v_fma_f64 v[221:222], v[215:216], s[16:17], v[90:91]
	v_fma_f64 v[90:91], v[215:216], s[12:13], v[90:91]
	;; [unrolled: 1-line block ×3, first 2 shown]
	v_mul_u32_u24_e32 v119, 0x12c0, v119
	v_fma_f64 v[106:107], v[227:228], s[18:19], v[106:107]
	v_mul_f64_e32 v[181:182], s[22:23], v[110:111]
	v_add_f64_e32 v[52:53], v[108:109], v[52:53]
	v_add_f64_e32 v[48:49], v[207:208], v[62:63]
	v_fma_f64 v[62:63], v[143:144], s[16:17], v[127:128]
	v_fma_f64 v[207:208], v[165:166], s[12:13], v[139:140]
	;; [unrolled: 1-line block ×18, first 2 shown]
	v_add_f64_e32 v[44:45], v[52:53], v[44:45]
	v_add_f64_e32 v[48:49], v[48:49], v[16:17]
	v_fma_f64 v[16:17], v[165:166], s[20:21], v[62:63]
	v_add_f64_e32 v[52:53], v[28:29], v[24:25]
	v_fma_f64 v[24:25], v[143:144], s[20:21], v[207:208]
	v_fma_f64 v[78:79], v[72:73], s[14:15], v[175:176]
	;; [unrolled: 1-line block ×21, first 2 shown]
	v_add_f64_e64 v[18:19], v[98:99], -v[8:9]
	v_fma_f64 v[171:172], v[229:230], s[18:19], v[32:33]
	v_mul_f64_e32 v[175:176], s[12:13], v[147:148]
	v_fma_f64 v[98:99], v[100:101], s[18:19], v[211:212]
	v_fma_f64 v[163:164], v[104:105], s[18:19], v[221:222]
	;; [unrolled: 1-line block ×3, first 2 shown]
	v_mul_f64_e32 v[100:101], s[18:19], v[0:1]
	v_mul_f64_e32 v[104:105], s[18:19], v[102:103]
	v_fma_f64 v[131:132], v[80:81], s[20:21], v[195:196]
	v_fma_f64 v[143:144], v[74:75], s[14:15], v[241:242]
	;; [unrolled: 1-line block ×4, first 2 shown]
	v_add_f64_e64 v[32:33], v[40:41], -v[36:37]
	v_add_f64_e32 v[22:23], v[44:45], v[38:39]
	v_fma_f64 v[74:75], v[74:75], s[20:21], v[34:35]
	v_fma_f64 v[129:130], v[233:234], s[18:19], v[16:17]
	v_add_f64_e64 v[16:17], v[96:97], -v[169:170]
	v_fma_f64 v[8:9], v[92:93], s[18:19], v[24:25]
	v_fma_f64 v[96:97], v[247:248], s[18:19], v[26:27]
	;; [unrolled: 1-line block ×6, first 2 shown]
	v_add_f64_e64 v[26:27], v[44:45], -v[38:39]
	v_fma_f64 v[121:122], v[203:204], s[18:19], v[121:122]
	v_fma_f64 v[139:140], v[161:162], s[18:19], v[139:140]
	;; [unrolled: 1-line block ×6, first 2 shown]
	v_mul_f64_e32 v[161:162], s[14:15], v[70:71]
	v_mul_f64_e32 v[167:168], s[20:21], v[76:77]
	v_fma_f64 v[108:109], v[177:178], s[18:19], v[108:109]
	v_fma_f64 v[135:136], v[177:178], s[18:19], v[20:21]
	v_mul_f64_e32 v[177:178], s[16:17], v[137:138]
	v_fma_f64 v[127:128], v[84:85], s[14:15], v[215:216]
	v_fma_f64 v[84:85], v[84:85], s[20:21], v[183:184]
	v_mul_f64_e32 v[183:184], s[22:23], v[123:124]
	v_mul_f64_e32 v[44:45], s[20:21], v[141:142]
	v_add_f64_e32 v[20:21], v[50:51], v[46:47]
	v_add_f64_e64 v[24:25], v[50:51], -v[46:47]
	v_add_f64_e32 v[28:29], v[40:41], v[36:37]
	v_add_f64_e32 v[30:31], v[52:53], v[48:49]
	v_add_f64_e64 v[34:35], v[52:53], -v[48:49]
	v_mul_f64_e32 v[48:49], s[22:23], v[171:172]
	v_fma_f64 v[80:81], v[80:81], s[14:15], v[187:188]
	v_fma_f64 v[185:186], v[217:218], s[18:19], v[54:55]
	;; [unrolled: 1-line block ×3, first 2 shown]
	v_mul_f64_e32 v[54:55], s[14:15], v[106:107]
	v_mul_f64_e32 v[195:196], s[18:19], v[56:57]
	v_fma_f64 v[0:1], v[0:1], s[16:17], -v[104:105]
	v_fma_f64 v[104:105], v[217:218], s[18:19], v[60:61]
	v_mul_f64_e32 v[38:39], s[14:15], v[129:130]
	v_mul_f64_e32 v[46:47], s[12:13], v[8:9]
	;; [unrolled: 1-line block ×12, first 2 shown]
	v_fma_f64 v[76:77], v[76:77], s[22:23], v[161:162]
	v_fma_f64 v[70:71], v[70:71], s[22:23], v[167:168]
	;; [unrolled: 1-line block ×6, first 2 shown]
	v_fma_f64 v[72:73], v[102:103], s[12:13], -v[100:101]
	v_fma_f64 v[167:168], v[243:244], s[18:19], v[173:174]
	v_fma_f64 v[173:174], v[225:226], s[18:19], v[64:65]
	v_fma_f64 v[64:65], v[123:124], s[14:15], -v[181:182]
	v_fma_f64 v[100:101], v[110:111], s[20:21], -v[183:184]
	v_fma_f64 v[110:111], v[129:130], s[22:23], v[44:45]
	v_fma_f64 v[123:124], v[149:150], s[18:19], v[127:128]
	;; [unrolled: 1-line block ×7, first 2 shown]
	v_fma_f64 v[149:150], v[68:69], s[14:15], -v[48:49]
	v_fma_f64 v[121:122], v[121:122], s[22:23], v[54:55]
	v_fma_f64 v[177:178], v[42:43], s[16:17], -v[195:196]
	v_fma_f64 v[80:81], v[179:180], s[18:19], v[80:81]
	v_add_f64_e32 v[54:55], v[135:136], v[0:1]
	v_fma_f64 v[102:103], v[141:142], s[22:23], v[38:39]
	v_fma_f64 v[141:142], v[239:240], s[18:19], v[74:75]
	;; [unrolled: 1-line block ×4, first 2 shown]
	v_fma_f64 v[125:126], v[92:93], s[12:13], -v[36:37]
	v_fma_f64 v[145:146], v[165:166], s[16:17], -v[40:41]
	;; [unrolled: 1-line block ×3, first 2 shown]
	v_fma_f64 v[171:172], v[106:107], s[22:23], v[62:63]
	v_fma_f64 v[133:134], v[133:134], s[18:19], v[189:190]
	;; [unrolled: 1-line block ×3, first 2 shown]
	v_fma_f64 v[175:176], v[56:57], s[12:13], -v[193:194]
	v_fma_f64 v[179:180], v[66:67], s[14:15], -v[197:198]
	;; [unrolled: 1-line block ×3, first 2 shown]
	v_add_f64_e32 v[36:37], v[98:99], v[76:77]
	v_add_f64_e32 v[38:39], v[163:164], v[70:71]
	v_add_f64_e64 v[40:41], v[98:99], -v[76:77]
	v_add_f64_e32 v[44:45], v[169:170], v[78:79]
	v_add_f64_e32 v[46:47], v[108:109], v[137:138]
	v_add_f64_e64 v[42:43], v[163:164], -v[70:71]
	v_add_f64_e32 v[52:53], v[4:5], v[72:73]
	v_add_f64_e64 v[48:49], v[169:170], -v[78:79]
	v_add_f64_e64 v[50:51], v[108:109], -v[137:138]
	v_add_f64_e32 v[60:61], v[88:89], v[64:65]
	v_add_f64_e32 v[62:63], v[90:91], v[100:101]
	v_add_f64_e64 v[56:57], v[4:5], -v[72:73]
	v_add_f64_e64 v[58:59], v[135:136], -v[0:1]
	;; [unrolled: 1-line block ×4, first 2 shown]
	v_add_f64_e32 v[70:71], v[187:188], v[110:111]
	v_add_f64_e64 v[74:75], v[187:188], -v[110:111]
	v_add3_u32 v0, 0, v119, v153
	v_add_f64_e32 v[100:101], v[104:105], v[149:150]
	v_add_f64_e64 v[104:105], v[104:105], -v[149:150]
	v_add_f64_e32 v[108:109], v[123:124], v[121:122]
	v_add_f64_e64 v[121:122], v[123:124], -v[121:122]
	v_add_f64_e32 v[135:136], v[143:144], v[177:178]
	v_add_f64_e32 v[68:69], v[185:186], v[102:103]
	v_add_f64_e64 v[72:73], v[185:186], -v[102:103]
	v_add_f64_e32 v[76:77], v[161:162], v[96:97]
	;; [unrolled: 3-line block ×3, first 2 shown]
	v_add_f64_e32 v[94:95], v[167:168], v[145:146]
	v_add_f64_e32 v[102:103], v[173:174], v[165:166]
	v_add_f64_e64 v[90:91], v[117:118], -v[8:9]
	v_add_f64_e64 v[96:97], v[147:148], -v[125:126]
	;; [unrolled: 1-line block ×4, first 2 shown]
	v_add_f64_e32 v[110:111], v[127:128], v[171:172]
	v_add_f64_e64 v[123:124], v[127:128], -v[171:172]
	v_add_f64_e32 v[125:126], v[129:130], v[133:134]
	v_add_f64_e32 v[127:128], v[131:132], v[139:140]
	v_add_f64_e64 v[129:130], v[129:130], -v[133:134]
	v_add_f64_e32 v[133:134], v[141:142], v[175:176]
	v_add_f64_e64 v[131:132], v[131:132], -v[139:140]
	v_add_f64_e64 v[137:138], v[141:142], -v[175:176]
	;; [unrolled: 1-line block ×3, first 2 shown]
	v_add_f64_e32 v[141:142], v[84:85], v[179:180]
	v_add_f64_e32 v[143:144], v[80:81], v[181:182]
	v_add_f64_e64 v[145:146], v[84:85], -v[179:180]
	v_add_f64_e64 v[147:148], v[80:81], -v[181:182]
	v_add_co_u32 v80, s0, s8, v10
	s_wait_alu 0xf1ff
	v_add_co_ci_u32_e64 v81, s0, s9, v11, s0
	v_add_co_u32 v4, s0, s8, v112
	v_add3_u32 v1, 0, v255, v2
	v_add3_u32 v2, 0, v254, v3
	ds_store_b128 v0, v[12:15]
	ds_store_b128 v0, v[36:39] offset:480
	ds_store_b128 v0, v[44:47] offset:960
	ds_store_b128 v0, v[52:55] offset:1440
	ds_store_b128 v0, v[60:63] offset:1920
	ds_store_b128 v0, v[16:19] offset:2400
	ds_store_b128 v0, v[40:43] offset:2880
	ds_store_b128 v0, v[48:51] offset:3360
	ds_store_b128 v0, v[56:59] offset:3840
	ds_store_b128 v0, v[64:67] offset:4320
	ds_store_b128 v1, v[20:23]
	ds_store_b128 v1, v[68:71] offset:480
	ds_store_b128 v1, v[76:79] offset:960
	ds_store_b128 v1, v[92:95] offset:1440
	ds_store_b128 v1, v[100:103] offset:1920
	ds_store_b128 v1, v[24:27] offset:2400
	ds_store_b128 v1, v[72:75] offset:2880
	ds_store_b128 v1, v[88:91] offset:3360
	ds_store_b128 v1, v[96:99] offset:3840
	ds_store_b128 v1, v[104:107] offset:4320
	;; [unrolled: 10-line block ×3, first 2 shown]
	s_wait_alu 0xf1ff
	v_add_co_ci_u32_e64 v5, s0, s9, v113, s0
	v_lshrrev_b32_e32 v89, 21, v151
	v_lshrrev_b32_e32 v2, 21, v251
	;; [unrolled: 1-line block ×3, first 2 shown]
	v_add_co_u32 v12, s0, s8, v6
	v_lshrrev_b32_e32 v6, 21, v253
	s_wait_alu 0xf1ff
	v_add_co_ci_u32_e64 v13, s0, s9, v7, s0
	v_mul_lo_u16 v7, 0x12c, v89
	v_mul_lo_u16 v2, 0x12c, v2
	;; [unrolled: 1-line block ×4, first 2 shown]
	v_add_co_u32 v0, s0, s8, v209
	v_sub_nc_u16 v7, v120, v7
	v_sub_nc_u16 v15, v116, v2
	;; [unrolled: 1-line block ×4, first 2 shown]
	s_wait_alu 0xf1ff
	v_add_co_ci_u32_e64 v1, s0, s9, v210, s0
	v_and_b32_e32 v90, 0xffff, v7
	v_and_b32_e32 v84, 0xffff, v15
	;; [unrolled: 1-line block ×4, first 2 shown]
	global_wb scope:SCOPE_SE
	s_wait_dscnt 0x0
	v_lshlrev_b32_e32 v34, 5, v90
	v_lshlrev_b32_e32 v41, 5, v84
	;; [unrolled: 1-line block ×4, first 2 shown]
	s_barrier_signal -1
	s_barrier_wait -1
	global_inv scope:SCOPE_SE
	s_clause 0x13
	global_load_b128 v[68:71], v[86:87], off offset:4752
	global_load_b128 v[44:47], v[82:83], off offset:4768
	;; [unrolled: 1-line block ×11, first 2 shown]
	global_load_b128 v[36:39], v34, s[8:9] offset:4752
	global_load_b128 v[52:55], v41, s[8:9] offset:4752
	;; [unrolled: 1-line block ×3, first 2 shown]
	global_load_b128 v[0:3], v[0:1], off offset:4768
	global_load_b128 v[48:51], v41, s[8:9] offset:4768
	global_load_b128 v[40:43], v56, s[8:9] offset:4752
	;; [unrolled: 1-line block ×5, first 2 shown]
	scratch_load_b32 v94, off, off offset:4 th:TH_LOAD_LU ; 4-byte Folded Reload
	v_add_nc_u32_e32 v92, 0x10e, v152
	v_cmp_lt_u32_e64 s0, 29, v152
	v_dual_mov_b32 v93, v159 :: v_dual_add_nc_u32 v96, 0x2d0, v158
	s_delay_alu instid0(VALU_DEP_3) | instskip(SKIP_1) | instid1(VALU_DEP_3)
	v_dual_mov_b32 v97, v159 :: v_dual_lshlrev_b32 v92, 1, v92
	s_wait_alu 0xf1ff
	v_cndmask_b32_e64 v91, 0, 0x3840, s0
	v_add_nc_u32_e32 v158, 0x384, v158
	v_mul_u32_u24_e32 v113, 0x3840, v89
	v_lshlrev_b64_e32 v[203:204], 4, v[96:97]
	v_lshlrev_b64_e32 v[100:101], 4, v[92:93]
	v_lshlrev_b32_e32 v153, 4, v90
	v_lshlrev_b64_e32 v[201:202], 4, v[158:159]
	v_lshlrev_b32_e32 v158, 1, v120
	s_delay_alu instid0(VALU_DEP_4) | instskip(NEXT) | instid1(VALU_DEP_2)
	v_add_co_u32 v207, s0, s8, v100
	v_lshlrev_b64_e32 v[205:206], 4, v[158:159]
	v_lshlrev_b32_e32 v158, 1, v116
	s_wait_alu 0xf1ff
	v_add_co_ci_u32_e64 v208, s0, s9, v101, s0
	s_wait_loadcnt 0x0
	v_lshlrev_b32_e32 v98, 4, v94
	ds_load_b128 v[92:95], v160 offset:14400
	v_add3_u32 v112, 0, v91, v98
	ds_load_b128 v[96:99], v160 offset:28800
	ds_load_b128 v[100:103], v160 offset:15840
	;; [unrolled: 1-line block ×20, first 2 shown]
	ds_load_b128 v[189:192], v160
	ds_load_b128 v[193:196], v160 offset:1440
	ds_load_b128 v[197:200], v160 offset:2880
	s_wait_dscnt 0x15
	v_mul_f64_e32 v[209:210], v[102:103], v[66:67]
	v_mul_f64_e32 v[89:90], v[94:95], v[70:71]
	;; [unrolled: 1-line block ×4, first 2 shown]
	s_wait_dscnt 0x11
	v_mul_f64_e32 v[211:212], v[120:121], v[46:47]
	v_mul_f64_e32 v[46:47], v[118:119], v[46:47]
	;; [unrolled: 1-line block ×6, first 2 shown]
	s_wait_dscnt 0x10
	v_mul_f64_e32 v[215:216], v[124:125], v[22:23]
	v_mul_f64_e32 v[22:23], v[122:123], v[22:23]
	s_wait_dscnt 0xf
	v_mul_f64_e32 v[217:218], v[128:129], v[26:27]
	v_mul_f64_e32 v[219:220], v[126:127], v[26:27]
	;; [unrolled: 3-line block ×3, first 2 shown]
	v_mul_f64_e32 v[223:224], v[132:133], v[10:11]
	v_mul_f64_e32 v[10:11], v[130:131], v[10:11]
	s_wait_dscnt 0xc
	v_mul_f64_e32 v[225:226], v[140:141], v[6:7]
	v_mul_f64_e32 v[6:7], v[138:139], v[6:7]
	s_wait_dscnt 0xb
	;; [unrolled: 3-line block ×4, first 2 shown]
	v_mul_f64_e32 v[233:234], v[183:184], v[58:59]
	v_mul_f64_e32 v[235:236], v[181:182], v[58:59]
	v_fma_f64 v[89:90], v[92:93], v[68:69], -v[89:90]
	v_fma_f64 v[68:69], v[94:95], v[68:69], v[70:71]
	v_mul_f64_e32 v[70:71], v[148:149], v[38:39]
	v_mul_f64_e32 v[38:39], v[146:147], v[38:39]
	v_mul_f64_e32 v[91:92], v[167:168], v[34:35]
	v_mul_f64_e32 v[34:35], v[165:166], v[34:35]
	v_fma_f64 v[93:94], v[96:97], v[60:61], -v[150:151]
	v_fma_f64 v[95:96], v[98:99], v[60:61], v[62:63]
	v_mul_f64_e32 v[97:98], v[171:172], v[54:55]
	v_mul_f64_e32 v[54:55], v[169:170], v[54:55]
	;; [unrolled: 6-line block ×3, first 2 shown]
	v_fma_f64 v[118:119], v[118:119], v[44:45], -v[211:212]
	v_fma_f64 v[46:47], v[120:121], v[44:45], v[46:47]
	v_mul_f64_e32 v[120:121], v[110:111], v[74:75]
	v_mul_f64_e32 v[74:75], v[108:109], v[74:75]
	s_wait_dscnt 0x3
	v_mul_f64_e32 v[211:212], v[187:188], v[78:79]
	v_mul_f64_e32 v[78:79], v[185:186], v[78:79]
	v_fma_f64 v[114:115], v[114:115], v[28:29], -v[213:214]
	v_fma_f64 v[30:31], v[116:117], v[28:29], v[30:31]
	v_fma_f64 v[116:117], v[122:123], v[20:21], -v[215:216]
	v_fma_f64 v[122:123], v[124:125], v[20:21], v[22:23]
	;; [unrolled: 2-line block ×8, first 2 shown]
	ds_load_b128 v[26:29], v160 offset:4320
	ds_load_b128 v[42:45], v160 offset:5760
	;; [unrolled: 1-line block ×4, first 2 shown]
	v_fma_f64 v[8:9], v[146:147], v[36:37], -v[70:71]
	v_fma_f64 v[10:11], v[148:149], v[36:37], v[38:39]
	v_fma_f64 v[36:37], v[165:166], v[32:33], -v[91:92]
	v_fma_f64 v[32:33], v[167:168], v[32:33], v[34:35]
	s_wait_dscnt 0x6
	v_add_f64_e32 v[91:92], v[189:190], v[89:90]
	ds_load_b128 v[22:25], v160 offset:10080
	ds_load_b128 v[62:65], v160 offset:11520
	v_fma_f64 v[12:13], v[169:170], v[52:53], -v[97:98]
	v_fma_f64 v[14:15], v[171:172], v[52:53], v[54:55]
	v_fma_f64 v[34:35], v[177:178], v[48:49], -v[150:151]
	v_fma_f64 v[38:39], v[179:180], v[48:49], v[50:51]
	;; [unrolled: 2-line block ×4, first 2 shown]
	v_add_f64_e32 v[97:98], v[99:100], v[118:119]
	v_add_f64_e32 v[101:102], v[66:67], v[46:47]
	v_fma_f64 v[54:55], v[108:109], v[72:73], -v[120:121]
	v_fma_f64 v[56:57], v[110:111], v[72:73], v[74:75]
	v_fma_f64 v[70:71], v[185:186], v[76:77], -v[211:212]
	v_fma_f64 v[72:73], v[187:188], v[76:77], v[78:79]
	v_add_f64_e32 v[74:75], v[89:90], v[93:94]
	v_add_f64_e32 v[76:77], v[68:69], v[95:96]
	;; [unrolled: 1-line block ×5, first 2 shown]
	s_wait_dscnt 0x6
	v_add_f64_e32 v[140:141], v[199:200], v[30:31]
	v_add_f64_e64 v[144:145], v[30:31], -v[122:123]
	v_add_f64_e32 v[30:31], v[124:125], v[128:129]
	v_add_f64_e32 v[146:147], v[126:127], v[134:135]
	v_add_f64_e32 v[108:109], v[195:196], v[66:67]
	v_add_f64_e32 v[161:162], v[0:1], v[130:131]
	v_add_f64_e32 v[163:164], v[2:3], v[132:133]
	v_add_f64_e32 v[110:111], v[193:194], v[99:100]
	v_add_f64_e32 v[142:143], v[197:198], v[114:115]
	v_add_f64_e32 v[173:174], v[4:5], v[16:17]
	v_add_f64_e32 v[175:176], v[6:7], v[136:137]
	s_wait_dscnt 0x5
	v_add_f64_e32 v[150:151], v[26:27], v[124:125]
	s_wait_dscnt 0x4
	v_add_f64_e32 v[167:168], v[42:43], v[0:1]
	v_add_f64_e32 v[165:166], v[44:45], v[2:3]
	s_wait_dscnt 0x3
	v_add_f64_e32 v[177:178], v[20:21], v[6:7]
	v_add_f64_e32 v[185:186], v[8:9], v[36:37]
	;; [unrolled: 1-line block ×3, first 2 shown]
	v_add_f64_e64 v[68:69], v[68:69], -v[95:96]
	v_add_f64_e64 v[89:90], v[89:90], -v[93:94]
	v_add_f64_e64 v[66:67], v[66:67], -v[46:47]
	v_add_f64_e64 v[99:100], v[99:100], -v[118:119]
	v_add_f64_e32 v[217:218], v[12:13], v[34:35]
	v_add_f64_e32 v[219:220], v[14:15], v[38:39]
	s_wait_dscnt 0x2
	v_add_f64_e32 v[211:212], v[58:59], v[8:9]
	s_wait_dscnt 0x1
	v_add_f64_e32 v[223:224], v[22:23], v[12:13]
	v_add_f64_e32 v[229:230], v[48:49], v[50:51]
	;; [unrolled: 1-line block ×3, first 2 shown]
	s_wait_dscnt 0x0
	v_add_f64_e32 v[233:234], v[64:65], v[40:41]
	v_add_f64_e32 v[235:236], v[62:63], v[48:49]
	v_add_f64_e64 v[237:238], v[40:41], -v[52:53]
	v_add_f64_e64 v[239:240], v[48:49], -v[50:51]
	v_add_f64_e32 v[40:41], v[54:55], v[70:71]
	v_add_f64_e32 v[48:49], v[56:57], v[72:73]
	;; [unrolled: 1-line block ×4, first 2 shown]
	v_add_f64_e64 v[245:246], v[56:57], -v[72:73]
	v_add_f64_e64 v[247:248], v[54:55], -v[70:71]
	v_fma_f64 v[54:55], v[74:75], -0.5, v[189:190]
	v_fma_f64 v[56:57], v[76:77], -0.5, v[191:192]
	;; [unrolled: 1-line block ×4, first 2 shown]
	v_add_f64_e64 v[114:115], v[114:115], -v[116:117]
	v_add_f64_e64 v[169:170], v[2:3], -v[132:133]
	;; [unrolled: 1-line block ×3, first 2 shown]
	v_add_f64_e32 v[2:3], v[78:79], v[95:96]
	v_add_f64_e32 v[0:1], v[91:92], v[93:94]
	v_fma_f64 v[78:79], v[120:121], -0.5, v[197:198]
	v_fma_f64 v[91:92], v[138:139], -0.5, v[199:200]
	v_add_f64_e32 v[148:149], v[28:29], v[126:127]
	v_add_f64_e64 v[126:127], v[126:127], -v[134:135]
	v_add_f64_e64 v[124:125], v[124:125], -v[128:129]
	v_fma_f64 v[93:94], v[30:31], -0.5, v[26:27]
	v_fma_f64 v[95:96], v[146:147], -0.5, v[28:29]
	v_add_f64_e32 v[221:222], v[24:25], v[14:15]
	v_add_f64_e32 v[179:180], v[18:19], v[4:5]
	v_fma_f64 v[97:98], v[161:162], -0.5, v[42:43]
	v_fma_f64 v[101:102], v[163:164], -0.5, v[44:45]
	v_add_f64_e64 v[181:182], v[6:7], -v[136:137]
	v_add_f64_e64 v[183:184], v[4:5], -v[16:17]
	v_add_f64_e32 v[6:7], v[108:109], v[46:47]
	v_add_f64_e32 v[4:5], v[110:111], v[118:119]
	v_fma_f64 v[108:109], v[173:174], -0.5, v[18:19]
	v_fma_f64 v[110:111], v[175:176], -0.5, v[20:21]
	v_add_f64_e32 v[209:210], v[60:61], v[10:11]
	v_add_f64_e64 v[213:214], v[10:11], -v[32:33]
	v_add_f64_e64 v[215:216], v[8:9], -v[36:37]
	v_add_f64_e32 v[8:9], v[142:143], v[116:117]
	v_fma_f64 v[116:117], v[185:186], -0.5, v[58:59]
	v_fma_f64 v[118:119], v[187:188], -0.5, v[60:61]
	v_add_f64_e64 v[225:226], v[14:15], -v[38:39]
	v_add_f64_e64 v[227:228], v[12:13], -v[34:35]
	v_fma_f64 v[120:121], v[217:218], -0.5, v[22:23]
	v_fma_f64 v[24:25], v[219:220], -0.5, v[24:25]
	v_add_f64_e32 v[12:13], v[150:151], v[128:129]
	v_add_f64_e32 v[26:27], v[167:168], v[130:131]
	v_fma_f64 v[128:129], v[229:230], -0.5, v[62:63]
	v_fma_f64 v[130:131], v[231:232], -0.5, v[64:65]
	v_add_f64_e32 v[28:29], v[165:166], v[132:133]
	v_add_f64_e32 v[18:19], v[177:178], v[136:137]
	v_fma_f64 v[132:133], v[40:41], -0.5, v[104:105]
	v_fma_f64 v[136:137], v[48:49], -0.5, v[106:107]
	v_fma_f64 v[46:47], v[68:69], s[10:11], v[54:55]
	v_fma_f64 v[48:49], v[89:90], s[4:5], v[56:57]
	v_fma_f64 v[42:43], v[68:69], s[4:5], v[54:55]
	v_fma_f64 v[44:45], v[89:90], s[10:11], v[56:57]
	v_fma_f64 v[54:55], v[66:67], s[10:11], v[74:75]
	v_fma_f64 v[56:57], v[99:100], s[4:5], v[76:77]
	v_add_f64_e32 v[10:11], v[140:141], v[122:123]
	v_add_f64_e32 v[30:31], v[211:212], v[36:37]
	;; [unrolled: 1-line block ×5, first 2 shown]
	v_fma_f64 v[50:51], v[66:67], s[4:5], v[74:75]
	v_fma_f64 v[52:53], v[99:100], s[10:11], v[76:77]
	;; [unrolled: 1-line block ×6, first 2 shown]
	v_add_f64_e32 v[14:15], v[148:149], v[134:135]
	v_fma_f64 v[66:67], v[126:127], s[4:5], v[93:94]
	v_fma_f64 v[68:69], v[124:125], s[10:11], v[95:96]
	v_add_f64_e32 v[22:23], v[221:222], v[38:39]
	v_add_f64_e32 v[40:41], v[241:242], v[72:73]
	;; [unrolled: 1-line block ×3, first 2 shown]
	v_fma_f64 v[70:71], v[126:127], s[10:11], v[93:94]
	v_fma_f64 v[72:73], v[124:125], s[4:5], v[95:96]
	v_add_f64_e32 v[16:17], v[179:180], v[16:17]
	v_fma_f64 v[74:75], v[169:170], s[4:5], v[97:98]
	v_fma_f64 v[76:77], v[171:172], s[10:11], v[101:102]
	;; [unrolled: 1-line block ×8, first 2 shown]
	v_add_f64_e32 v[32:33], v[209:210], v[32:33]
	v_fma_f64 v[101:102], v[213:214], s[4:5], v[116:117]
	v_fma_f64 v[103:104], v[215:216], s[10:11], v[118:119]
	;; [unrolled: 1-line block ×16, first 2 shown]
	v_lshl_add_u32 v24, v84, 4, 0
	v_lshl_add_u32 v25, v85, 4, 0
	;; [unrolled: 1-line block ×3, first 2 shown]
	v_add3_u32 v79, 0, v113, v153
	global_wb scope:SCOPE_SE
	s_barrier_signal -1
	s_barrier_wait -1
	global_inv scope:SCOPE_SE
	ds_store_b128 v160, v[0:3]
	ds_store_b128 v160, v[4:7] offset:1440
	ds_store_b128 v160, v[46:49] offset:9600
	ds_store_b128 v160, v[54:57] offset:11040
	ds_store_b128 v160, v[42:45] offset:4800
	ds_store_b128 v160, v[8:11] offset:2880
	ds_store_b128 v160, v[50:53] offset:6240
	ds_store_b128 v160, v[58:61] offset:7680
	ds_store_b128 v160, v[62:65] offset:12480
	ds_store_b128 v112, v[12:15]
	ds_store_b128 v112, v[66:69] offset:4800
	ds_store_b128 v112, v[70:73] offset:9600
	ds_store_b128 v160, v[26:29] offset:15360
	ds_store_b128 v160, v[16:19] offset:16800
	ds_store_b128 v160, v[74:77] offset:20160
	ds_store_b128 v160, v[93:96] offset:21600
	ds_store_b128 v160, v[89:92] offset:24960
	ds_store_b128 v160, v[97:100] offset:26400
	;; [unrolled: 9-line block ×3, first 2 shown]
	ds_store_b128 v78, v[38:41] offset:28800
	ds_store_b128 v78, v[130:133] offset:33600
	;; [unrolled: 1-line block ×3, first 2 shown]
	global_wb scope:SCOPE_SE
	s_wait_dscnt 0x0
	s_barrier_signal -1
	s_barrier_wait -1
	global_inv scope:SCOPE_SE
	s_clause 0x2
	global_load_b128 v[148:151], v[86:87], off offset:14352
	global_load_b128 v[165:168], v[82:83], off offset:14368
	;; [unrolled: 1-line block ×3, first 2 shown]
	v_add_co_u32 v0, s0, s8, v203
	v_lshlrev_b64_e32 v[4:5], 4, v[158:159]
	v_lshlrev_b32_e32 v158, 1, v250
	s_wait_alu 0xf1ff
	v_add_co_ci_u32_e64 v1, s0, s9, v204, s0
	v_add_co_u32 v2, s0, s8, v201
	s_wait_alu 0xf1ff
	v_add_co_ci_u32_e64 v3, s0, s9, v202, s0
	v_lshlrev_b64_e32 v[8:9], 4, v[158:159]
	v_lshlrev_b32_e32 v158, 1, v249
	v_add_co_u32 v6, s0, s8, v205
	s_clause 0x1
	global_load_b128 v[161:164], v[82:83], off offset:14352
	global_load_b128 v[92:95], v[80:81], off offset:14352
	s_wait_alu 0xf1ff
	v_add_co_ci_u32_e64 v7, s0, s9, v206, s0
	s_clause 0x3
	global_load_b128 v[60:63], v[80:81], off offset:14368
	global_load_b128 v[52:55], v[207:208], off offset:14352
	;; [unrolled: 1-line block ×4, first 2 shown]
	v_add_co_u32 v4, s0, s8, v4
	s_clause 0x3
	global_load_b128 v[44:47], v[0:1], off offset:14368
	global_load_b128 v[32:35], v[2:3], off offset:14352
	;; [unrolled: 1-line block ×4, first 2 shown]
	v_lshlrev_b64_e32 v[2:3], 4, v[158:159]
	s_wait_alu 0xf1ff
	v_add_co_ci_u32_e64 v5, s0, s9, v5, s0
	v_add_co_u32 v0, s0, s8, v8
	s_wait_alu 0xf1ff
	v_add_co_ci_u32_e64 v1, s0, s9, v9, s0
	global_load_b128 v[24:27], v[6:7], off offset:14368
	v_add_co_u32 v2, s0, s8, v2
	s_wait_alu 0xf1ff
	v_add_co_ci_u32_e64 v3, s0, s9, v3, s0
	s_clause 0x5
	global_load_b128 v[56:59], v[4:5], off offset:14352
	global_load_b128 v[48:51], v[4:5], off offset:14368
	;; [unrolled: 1-line block ×6, first 2 shown]
	ds_load_b128 v[169:172], v160 offset:14400
	ds_load_b128 v[0:3], v160 offset:12960
	;; [unrolled: 1-line block ×21, first 2 shown]
	ds_load_b128 v[4:7], v160
	ds_load_b128 v[8:11], v160 offset:1440
	ds_load_b128 v[12:15], v160 offset:2880
	;; [unrolled: 1-line block ×4, first 2 shown]
	s_wait_loadcnt_dscnt 0x1319
	v_mul_f64_e32 v[193:194], v[171:172], v[150:151]
	s_wait_loadcnt_dscnt 0x1213
	v_mul_f64_e32 v[199:200], v[187:188], v[167:168]
	s_wait_loadcnt 0x11
	v_mul_f64_e32 v[195:196], v[175:176], v[146:147]
	v_mul_f64_e32 v[167:168], v[185:186], v[167:168]
	;; [unrolled: 1-line block ×4, first 2 shown]
	s_wait_loadcnt 0x10
	v_mul_f64_e32 v[197:198], v[179:180], v[163:164]
	v_mul_f64_e32 v[163:164], v[177:178], v[163:164]
	s_wait_loadcnt 0xf
	v_mul_f64_e32 v[201:202], v[183:184], v[94:95]
	v_mul_f64_e32 v[94:95], v[181:182], v[94:95]
	s_wait_loadcnt_dscnt 0xe12
	v_mul_f64_e32 v[203:204], v[134:135], v[62:63]
	v_mul_f64_e32 v[62:63], v[132:133], v[62:63]
	s_wait_loadcnt_dscnt 0xd11
	v_mul_f64_e32 v[205:206], v[126:127], v[54:55]
	v_mul_f64_e32 v[54:55], v[124:125], v[54:55]
	s_wait_loadcnt_dscnt 0xc0f
	v_mul_f64_e32 v[207:208], v[130:131], v[42:43]
	v_mul_f64_e32 v[42:43], v[128:129], v[42:43]
	s_wait_loadcnt 0xb
	v_mul_f64_e32 v[209:210], v[118:119], v[30:31]
	v_mul_f64_e32 v[30:31], v[116:117], v[30:31]
	s_wait_loadcnt_dscnt 0xa0e
	v_mul_f64_e32 v[211:212], v[122:123], v[46:47]
	v_mul_f64_e32 v[46:47], v[120:121], v[46:47]
	s_wait_loadcnt_dscnt 0x90d
	v_mul_f64_e32 v[213:214], v[110:111], v[34:35]
	v_mul_f64_e32 v[34:35], v[108:109], v[34:35]
	s_wait_loadcnt_dscnt 0x80b
	;; [unrolled: 12-line block ×3, first 2 shown]
	v_mul_f64_e32 v[223:224], v[106:107], v[50:51]
	v_mul_f64_e32 v[50:51], v[104:105], v[50:51]
	v_fma_f64 v[169:170], v[169:170], v[148:149], -v[193:194]
	s_wait_loadcnt 0x3
	v_mul_f64_e32 v[193:194], v[82:83], v[38:39]
	v_mul_f64_e32 v[38:39], v[80:81], v[38:39]
	s_wait_loadcnt_dscnt 0x206
	v_mul_f64_e32 v[225:226], v[86:87], v[66:67]
	v_mul_f64_e32 v[66:67], v[84:85], v[66:67]
	v_fma_f64 v[173:174], v[173:174], v[144:145], -v[195:196]
	s_wait_loadcnt 0x1
	v_mul_f64_e32 v[195:196], v[78:79], v[70:71]
	v_mul_f64_e32 v[70:71], v[76:77], v[70:71]
	s_wait_loadcnt_dscnt 0x5
	v_mul_f64_e32 v[227:228], v[191:192], v[74:75]
	v_mul_f64_e32 v[74:75], v[189:190], v[74:75]
	v_fma_f64 v[185:186], v[185:186], v[165:166], -v[199:200]
	v_fma_f64 v[165:166], v[187:188], v[165:166], v[167:168]
	v_fma_f64 v[177:178], v[177:178], v[161:162], -v[197:198]
	v_fma_f64 v[179:180], v[179:180], v[161:162], v[163:164]
	v_fma_f64 v[171:172], v[171:172], v[148:149], v[150:151]
	;; [unrolled: 1-line block ×3, first 2 shown]
	v_fma_f64 v[167:168], v[181:182], v[92:93], -v[201:202]
	v_fma_f64 v[181:182], v[183:184], v[92:93], v[94:95]
	v_fma_f64 v[132:133], v[132:133], v[60:61], -v[203:204]
	v_fma_f64 v[60:61], v[134:135], v[60:61], v[62:63]
	v_fma_f64 v[62:63], v[124:125], v[52:53], -v[205:206]
	v_fma_f64 v[52:53], v[126:127], v[52:53], v[54:55]
	v_fma_f64 v[54:55], v[128:129], v[40:41], -v[207:208]
	v_fma_f64 v[40:41], v[130:131], v[40:41], v[42:43]
	v_fma_f64 v[42:43], v[116:117], v[28:29], -v[209:210]
	v_fma_f64 v[28:29], v[118:119], v[28:29], v[30:31]
	v_fma_f64 v[30:31], v[120:121], v[44:45], -v[211:212]
	v_fma_f64 v[44:45], v[122:123], v[44:45], v[46:47]
	v_fma_f64 v[46:47], v[108:109], v[32:33], -v[213:214]
	v_fma_f64 v[32:33], v[110:111], v[32:33], v[34:35]
	v_fma_f64 v[34:35], v[112:113], v[20:21], -v[215:216]
	v_fma_f64 v[108:109], v[114:115], v[20:21], v[22:23]
	v_fma_f64 v[20:21], v[96:97], v[16:17], -v[217:218]
	v_fma_f64 v[16:17], v[98:99], v[16:17], v[18:19]
	v_fma_f64 v[96:97], v[100:101], v[24:25], -v[219:220]
	v_fma_f64 v[98:99], v[102:103], v[24:25], v[26:27]
	v_fma_f64 v[18:19], v[88:89], v[56:57], -v[221:222]
	v_fma_f64 v[22:23], v[90:91], v[56:57], v[58:59]
	v_fma_f64 v[56:57], v[104:105], v[48:49], -v[223:224]
	v_fma_f64 v[48:49], v[106:107], v[48:49], v[50:51]
	v_fma_f64 v[24:25], v[80:81], v[36:37], -v[193:194]
	v_fma_f64 v[26:27], v[82:83], v[36:37], v[38:39]
	v_fma_f64 v[36:37], v[84:85], v[64:65], -v[225:226]
	v_fma_f64 v[38:39], v[86:87], v[64:65], v[66:67]
	v_fma_f64 v[50:51], v[76:77], v[68:69], -v[195:196]
	v_fma_f64 v[58:59], v[78:79], v[68:69], v[70:71]
	v_fma_f64 v[64:65], v[189:190], v[72:73], -v[227:228]
	v_fma_f64 v[66:67], v[191:192], v[72:73], v[74:75]
	ds_load_b128 v[144:147], v160 offset:7200
	ds_load_b128 v[148:151], v160 offset:8640
	v_add_f64_e32 v[68:69], v[169:170], v[173:174]
	v_add_f64_e32 v[78:79], v[177:178], v[185:186]
	v_add_f64_e32 v[80:81], v[179:180], v[165:166]
	s_wait_dscnt 0x6
	v_add_f64_e32 v[72:73], v[6:7], v[171:172]
	v_add_f64_e32 v[70:71], v[171:172], v[175:176]
	v_add_f64_e32 v[74:75], v[4:5], v[169:170]
	s_wait_dscnt 0x5
	;; [unrolled: 4-line block ×3, first 2 shown]
	v_add_f64_e32 v[120:121], v[136:137], v[62:63]
	v_add_f64_e32 v[118:119], v[138:139], v[52:53]
	;; [unrolled: 1-line block ×4, first 2 shown]
	v_add_f64_e64 v[122:123], v[52:53], -v[40:41]
	v_add_f64_e64 v[124:125], v[62:63], -v[54:55]
	v_add_f64_e32 v[52:53], v[42:43], v[30:31]
	v_add_f64_e32 v[62:63], v[28:29], v[44:45]
	;; [unrolled: 1-line block ×3, first 2 shown]
	s_wait_dscnt 0x2
	v_add_f64_e32 v[126:127], v[142:143], v[28:29]
	v_add_f64_e64 v[130:131], v[28:29], -v[44:45]
	v_add_f64_e32 v[28:29], v[46:47], v[34:35]
	v_add_f64_e32 v[134:135], v[32:33], v[108:109]
	v_add_f64_e64 v[76:77], v[171:172], -v[175:176]
	v_add_f64_e64 v[88:89], v[177:178], -v[185:186]
	v_add_f64_e32 v[102:103], v[14:15], v[181:182]
	v_add_f64_e32 v[104:105], v[12:13], v[167:168]
	v_add_f64_e64 v[110:111], v[167:168], -v[132:133]
	s_wait_dscnt 0x1
	v_add_f64_e32 v[167:168], v[146:147], v[32:33]
	v_add_f64_e64 v[171:172], v[32:33], -v[108:109]
	v_add_f64_e32 v[32:33], v[20:21], v[96:97]
	v_add_f64_e32 v[177:178], v[16:17], v[98:99]
	v_add_f64_e64 v[86:87], v[179:180], -v[165:166]
	v_add_f64_e32 v[128:129], v[140:141], v[42:43]
	s_wait_dscnt 0x0
	v_add_f64_e32 v[179:180], v[150:151], v[16:17]
	v_add_f64_e32 v[189:190], v[18:19], v[56:57]
	;; [unrolled: 1-line block ×5, first 2 shown]
	ds_load_b128 v[92:95], v160 offset:10080
	ds_load_b128 v[161:164], v160 offset:11520
	v_add_f64_e32 v[213:214], v[50:51], v[64:65]
	v_add_f64_e32 v[215:216], v[58:59], v[66:67]
	v_add_f64_e64 v[112:113], v[169:170], -v[173:174]
	v_add_f64_e32 v[169:170], v[144:145], v[46:47]
	v_add_f64_e64 v[106:107], v[181:182], -v[60:61]
	v_add_f64_e32 v[181:182], v[148:149], v[20:21]
	v_add_f64_e32 v[217:218], v[2:3], v[58:59]
	;; [unrolled: 1-line block ×3, first 2 shown]
	v_add_f64_e64 v[221:222], v[58:59], -v[66:67]
	v_add_f64_e64 v[223:224], v[50:51], -v[64:65]
	v_fma_f64 v[50:51], v[68:69], -0.5, v[4:5]
	v_fma_f64 v[58:59], v[78:79], -0.5, v[8:9]
	v_fma_f64 v[68:69], v[80:81], -0.5, v[10:11]
	v_fma_f64 v[225:226], v[70:71], -0.5, v[6:7]
	v_add_f64_e32 v[6:7], v[72:73], v[175:176]
	v_fma_f64 v[70:71], v[90:91], -0.5, v[12:13]
	v_fma_f64 v[72:73], v[100:101], -0.5, v[14:15]
	v_add_f64_e32 v[4:5], v[74:75], v[173:174]
	s_wait_dscnt 0x1
	v_add_f64_e32 v[193:194], v[94:95], v[22:23]
	v_add_f64_e32 v[195:196], v[92:93], v[18:19]
	s_wait_dscnt 0x0
	v_add_f64_e32 v[205:206], v[163:164], v[26:27]
	v_add_f64_e32 v[207:208], v[161:162], v[24:25]
	v_fma_f64 v[74:75], v[114:115], -0.5, v[136:137]
	v_fma_f64 v[78:79], v[116:117], -0.5, v[138:139]
	v_add_f64_e64 v[42:43], v[42:43], -v[30:31]
	v_add_f64_e32 v[10:11], v[82:83], v[165:166]
	v_fma_f64 v[80:81], v[52:53], -0.5, v[140:141]
	v_fma_f64 v[82:83], v[62:63], -0.5, v[142:143]
	v_add_f64_e64 v[46:47], v[46:47], -v[34:35]
	;; [unrolled: 4-line block ×3, first 2 shown]
	v_add_f64_e64 v[187:188], v[20:21], -v[96:97]
	v_add_f64_e32 v[14:15], v[102:103], v[60:61]
	v_fma_f64 v[100:101], v[32:33], -0.5, v[148:149]
	v_fma_f64 v[102:103], v[177:178], -0.5, v[150:151]
	v_add_f64_e64 v[197:198], v[22:23], -v[48:49]
	v_add_f64_e64 v[199:200], v[18:19], -v[56:57]
	v_add_f64_e32 v[12:13], v[104:105], v[132:133]
	v_add_f64_e32 v[20:21], v[128:129], v[30:31]
	;; [unrolled: 1-line block ×3, first 2 shown]
	v_fma_f64 v[98:99], v[189:190], -0.5, v[92:93]
	v_fma_f64 v[104:105], v[191:192], -0.5, v[94:95]
	v_add_f64_e64 v[209:210], v[26:27], -v[38:39]
	v_add_f64_e64 v[211:212], v[24:25], -v[36:37]
	v_add_f64_e32 v[26:27], v[167:168], v[108:109]
	v_fma_f64 v[108:109], v[201:202], -0.5, v[161:162]
	v_fma_f64 v[114:115], v[203:204], -0.5, v[163:164]
	v_add_f64_e32 v[18:19], v[118:119], v[40:41]
	v_fma_f64 v[116:117], v[213:214], -0.5, v[0:1]
	v_fma_f64 v[118:119], v[215:216], -0.5, v[2:3]
	v_add_f64_e32 v[16:17], v[120:121], v[54:55]
	v_add_f64_e32 v[22:23], v[126:127], v[44:45]
	;; [unrolled: 1-line block ×8, first 2 shown]
	v_fma_f64 v[40:41], v[76:77], s[4:5], v[50:51]
	v_fma_f64 v[44:45], v[76:77], s[10:11], v[50:51]
	;; [unrolled: 1-line block ×10, first 2 shown]
	v_add_f64_e32 v[2:3], v[217:218], v[66:67]
	v_add_f64_e32 v[0:1], v[219:220], v[64:65]
	v_fma_f64 v[64:65], v[122:123], s[4:5], v[74:75]
	v_fma_f64 v[66:67], v[124:125], s[10:11], v[78:79]
	;; [unrolled: 1-line block ×30, first 2 shown]
	global_wb scope:SCOPE_SE
	s_barrier_signal -1
	s_barrier_wait -1
	global_inv scope:SCOPE_SE
	ds_store_b128 v160, v[8:11] offset:1440
	ds_store_b128 v160, v[12:15] offset:2880
	;; [unrolled: 1-line block ×28, first 2 shown]
	ds_store_b128 v160, v[4:7]
	ds_store_b128 v160, v[116:119] offset:41760
	global_wb scope:SCOPE_SE
	s_wait_dscnt 0x0
	s_barrier_signal -1
	s_barrier_wait -1
	global_inv scope:SCOPE_SE
	s_and_saveexec_b32 s0, vcc_lo
	s_cbranch_execz .LBB0_21
; %bb.20:
	v_mul_lo_u32 v0, s3, v156
	v_mul_lo_u32 v1, s2, v157
	v_mad_co_u64_u32 v[4:5], null, s2, v156, 0
	v_dual_mov_b32 v153, v159 :: v_dual_add_nc_u32 v158, 0x5a, v152
	v_lshlrev_b64_e32 v[12:13], 4, v[154:155]
	v_lshl_add_u32 v32, v152, 4, 0
	s_delay_alu instid0(VALU_DEP_3)
	v_lshlrev_b64_e32 v[14:15], 4, v[152:153]
	v_add3_u32 v5, v5, v1, v0
	v_lshlrev_b64_e32 v[18:19], 4, v[158:159]
	v_add_nc_u32_e32 v158, 0xb4, v152
	ds_load_b128 v[0:3], v32
	v_lshlrev_b64_e32 v[16:17], 4, v[4:5]
	ds_load_b128 v[4:7], v32 offset:1440
	ds_load_b128 v[8:11], v32 offset:2880
	v_add_co_u32 v20, vcc_lo, s6, v16
	s_wait_alu 0xfffd
	v_add_co_ci_u32_e32 v21, vcc_lo, s7, v17, vcc_lo
	v_lshlrev_b64_e32 v[16:17], 4, v[158:159]
	s_delay_alu instid0(VALU_DEP_3) | instskip(SKIP_1) | instid1(VALU_DEP_3)
	v_add_co_u32 v36, vcc_lo, v20, v12
	s_wait_alu 0xfffd
	v_add_co_ci_u32_e32 v37, vcc_lo, v21, v13, vcc_lo
	v_add_nc_u32_e32 v158, 0x10e, v152
	s_delay_alu instid0(VALU_DEP_3) | instskip(SKIP_1) | instid1(VALU_DEP_3)
	v_add_co_u32 v20, vcc_lo, v36, v14
	s_wait_alu 0xfffd
	v_add_co_ci_u32_e32 v21, vcc_lo, v37, v15, vcc_lo
	ds_load_b128 v[12:15], v32 offset:4320
	v_add_co_u32 v22, vcc_lo, v36, v18
	s_wait_alu 0xfffd
	v_add_co_ci_u32_e32 v23, vcc_lo, v37, v19, vcc_lo
	v_lshlrev_b64_e32 v[18:19], 4, v[158:159]
	v_add_nc_u32_e32 v158, 0x168, v152
	v_add_co_u32 v24, vcc_lo, v36, v16
	s_wait_alu 0xfffd
	v_add_co_ci_u32_e32 v25, vcc_lo, v37, v17, vcc_lo
	s_delay_alu instid0(VALU_DEP_4)
	v_add_co_u32 v26, vcc_lo, v36, v18
	v_lshlrev_b64_e32 v[28:29], 4, v[158:159]
	v_add_nc_u32_e32 v158, 0x1c2, v152
	s_wait_alu 0xfffd
	v_add_co_ci_u32_e32 v27, vcc_lo, v37, v19, vcc_lo
	ds_load_b128 v[16:19], v32 offset:41760
	s_wait_dscnt 0x4
	global_store_b128 v[20:21], v[0:3], off
	s_wait_dscnt 0x3
	global_store_b128 v[22:23], v[4:7], off
	v_lshlrev_b64_e32 v[20:21], 4, v[158:159]
	v_add_nc_u32_e32 v158, 0x21c, v152
	ds_load_b128 v[0:3], v32 offset:5760
	s_wait_dscnt 0x3
	global_store_b128 v[24:25], v[8:11], off
	s_wait_dscnt 0x2
	global_store_b128 v[26:27], v[12:15], off
	ds_load_b128 v[4:7], v32 offset:7200
	ds_load_b128 v[8:11], v32 offset:8640
	;; [unrolled: 1-line block ×3, first 2 shown]
	v_lshlrev_b64_e32 v[24:25], 4, v[158:159]
	v_add_nc_u32_e32 v158, 0x276, v152
	v_add_co_u32 v22, vcc_lo, v36, v28
	s_wait_alu 0xfffd
	v_add_co_ci_u32_e32 v23, vcc_lo, v37, v29, vcc_lo
	v_add_co_u32 v20, vcc_lo, v36, v20
	v_lshlrev_b64_e32 v[26:27], 4, v[158:159]
	v_add_nc_u32_e32 v158, 0x2d0, v152
	s_wait_alu 0xfffd
	v_add_co_ci_u32_e32 v21, vcc_lo, v37, v21, vcc_lo
	v_add_co_u32 v24, vcc_lo, v36, v24
	s_wait_alu 0xfffd
	v_add_co_ci_u32_e32 v25, vcc_lo, v37, v25, vcc_lo
	v_add_co_u32 v26, vcc_lo, v36, v26
	v_lshlrev_b64_e32 v[28:29], 4, v[158:159]
	v_add_nc_u32_e32 v158, 0x32a, v152
	s_wait_alu 0xfffd
	v_add_co_ci_u32_e32 v27, vcc_lo, v37, v27, vcc_lo
	s_wait_dscnt 0x3
	global_store_b128 v[22:23], v[0:3], off
	s_wait_dscnt 0x2
	global_store_b128 v[20:21], v[4:7], off
	ds_load_b128 v[0:3], v32 offset:11520
	v_lshlrev_b64_e32 v[20:21], 4, v[158:159]
	v_add_nc_u32_e32 v158, 0x384, v152
	s_wait_dscnt 0x2
	global_store_b128 v[24:25], v[8:11], off
	s_wait_dscnt 0x1
	global_store_b128 v[26:27], v[12:15], off
	ds_load_b128 v[4:7], v32 offset:12960
	ds_load_b128 v[8:11], v32 offset:14400
	ds_load_b128 v[12:15], v32 offset:15840
	v_add_co_u32 v22, vcc_lo, v36, v28
	v_lshlrev_b64_e32 v[24:25], 4, v[158:159]
	v_add_nc_u32_e32 v158, 0x3de, v152
	s_wait_alu 0xfffd
	v_add_co_ci_u32_e32 v23, vcc_lo, v37, v29, vcc_lo
	v_add_co_u32 v20, vcc_lo, v36, v20
	s_delay_alu instid0(VALU_DEP_3)
	v_lshlrev_b64_e32 v[26:27], 4, v[158:159]
	v_add_nc_u32_e32 v158, 0x438, v152
	s_wait_alu 0xfffd
	v_add_co_ci_u32_e32 v21, vcc_lo, v37, v21, vcc_lo
	v_add_co_u32 v24, vcc_lo, v36, v24
	s_wait_alu 0xfffd
	v_add_co_ci_u32_e32 v25, vcc_lo, v37, v25, vcc_lo
	v_add_co_u32 v26, vcc_lo, v36, v26
	v_lshlrev_b64_e32 v[28:29], 4, v[158:159]
	v_add_nc_u32_e32 v158, 0x492, v152
	s_wait_alu 0xfffd
	v_add_co_ci_u32_e32 v27, vcc_lo, v37, v27, vcc_lo
	s_wait_dscnt 0x3
	global_store_b128 v[22:23], v[0:3], off
	s_wait_dscnt 0x2
	global_store_b128 v[20:21], v[4:7], off
	ds_load_b128 v[0:3], v32 offset:17280
	v_lshlrev_b64_e32 v[20:21], 4, v[158:159]
	v_add_nc_u32_e32 v158, 0x4ec, v152
	s_wait_dscnt 0x2
	global_store_b128 v[24:25], v[8:11], off
	s_wait_dscnt 0x1
	global_store_b128 v[26:27], v[12:15], off
	ds_load_b128 v[4:7], v32 offset:18720
	ds_load_b128 v[8:11], v32 offset:20160
	ds_load_b128 v[12:15], v32 offset:21600
	v_add_co_u32 v22, vcc_lo, v36, v28
	v_lshlrev_b64_e32 v[24:25], 4, v[158:159]
	v_add_nc_u32_e32 v158, 0x546, v152
	s_wait_alu 0xfffd
	v_add_co_ci_u32_e32 v23, vcc_lo, v37, v29, vcc_lo
	v_add_co_u32 v20, vcc_lo, v36, v20
	s_delay_alu instid0(VALU_DEP_3)
	;; [unrolled: 33-line block ×3, first 2 shown]
	v_lshlrev_b64_e32 v[26:27], 4, v[158:159]
	s_wait_alu 0xfffd
	v_add_co_ci_u32_e32 v21, vcc_lo, v37, v21, vcc_lo
	v_add_nc_u32_e32 v158, 0x708, v152
	v_add_co_u32 v24, vcc_lo, v36, v24
	s_wait_alu 0xfffd
	v_add_co_ci_u32_e32 v25, vcc_lo, v37, v25, vcc_lo
	v_add_co_u32 v26, vcc_lo, v36, v26
	v_lshlrev_b64_e32 v[28:29], 4, v[158:159]
	v_add_nc_u32_e32 v158, 0x762, v152
	s_wait_alu 0xfffd
	v_add_co_ci_u32_e32 v27, vcc_lo, v37, v27, vcc_lo
	s_wait_dscnt 0x3
	global_store_b128 v[22:23], v[0:3], off
	s_wait_dscnt 0x2
	global_store_b128 v[20:21], v[4:7], off
	ds_load_b128 v[0:3], v32 offset:28800
	s_wait_dscnt 0x2
	global_store_b128 v[24:25], v[8:11], off
	s_wait_dscnt 0x1
	global_store_b128 v[26:27], v[12:15], off
	v_lshlrev_b64_e32 v[20:21], 4, v[158:159]
	v_add_nc_u32_e32 v158, 0x7bc, v152
	ds_load_b128 v[4:7], v32 offset:30240
	ds_load_b128 v[8:11], v32 offset:31680
	;; [unrolled: 1-line block ×3, first 2 shown]
	v_add_co_u32 v22, vcc_lo, v36, v28
	v_lshlrev_b64_e32 v[24:25], 4, v[158:159]
	v_add_nc_u32_e32 v158, 0x816, v152
	s_wait_alu 0xfffd
	v_add_co_ci_u32_e32 v23, vcc_lo, v37, v29, vcc_lo
	v_add_co_u32 v20, vcc_lo, v36, v20
	s_delay_alu instid0(VALU_DEP_3) | instskip(SKIP_4) | instid1(VALU_DEP_3)
	v_lshlrev_b64_e32 v[26:27], 4, v[158:159]
	v_add_nc_u32_e32 v158, 0x870, v152
	s_wait_alu 0xfffd
	v_add_co_ci_u32_e32 v21, vcc_lo, v37, v21, vcc_lo
	v_add_co_u32 v24, vcc_lo, v36, v24
	v_lshlrev_b64_e32 v[28:29], 4, v[158:159]
	v_add_nc_u32_e32 v158, 0x8ca, v152
	s_wait_alu 0xfffd
	v_add_co_ci_u32_e32 v25, vcc_lo, v37, v25, vcc_lo
	v_add_co_u32 v26, vcc_lo, v36, v26
	s_wait_dscnt 0x3
	global_store_b128 v[22:23], v[0:3], off
	s_wait_dscnt 0x2
	global_store_b128 v[20:21], v[4:7], off
	v_lshlrev_b64_e32 v[4:5], 4, v[158:159]
	v_add_nc_u32_e32 v158, 0x924, v152
	s_wait_alu 0xfffd
	v_add_co_ci_u32_e32 v27, vcc_lo, v37, v27, vcc_lo
	ds_load_b128 v[0:3], v32 offset:34560
	s_wait_dscnt 0x2
	global_store_b128 v[24:25], v[8:11], off
	s_wait_dscnt 0x1
	global_store_b128 v[26:27], v[12:15], off
	v_add_co_u32 v24, vcc_lo, v36, v28
	v_lshlrev_b64_e32 v[12:13], 4, v[158:159]
	s_wait_alu 0xfffd
	v_add_co_ci_u32_e32 v25, vcc_lo, v37, v29, vcc_lo
	v_add_co_u32 v26, vcc_lo, v36, v4
	v_add_nc_u32_e32 v158, 0x97e, v152
	s_wait_alu 0xfffd
	v_add_co_ci_u32_e32 v27, vcc_lo, v37, v5, vcc_lo
	v_add_co_u32 v30, vcc_lo, v36, v12
	ds_load_b128 v[4:7], v32 offset:36000
	ds_load_b128 v[8:11], v32 offset:37440
	s_wait_alu 0xfffd
	v_add_co_ci_u32_e32 v31, vcc_lo, v37, v13, vcc_lo
	ds_load_b128 v[12:15], v32 offset:38880
	ds_load_b128 v[20:23], v32 offset:40320
	v_lshlrev_b64_e32 v[28:29], 4, v[158:159]
	v_add_nc_u32_e32 v158, 0x9d8, v152
	s_delay_alu instid0(VALU_DEP_1) | instskip(SKIP_1) | instid1(VALU_DEP_4)
	v_lshlrev_b64_e32 v[32:33], 4, v[158:159]
	v_add_nc_u32_e32 v158, 0xa32, v152
	v_add_co_u32 v28, vcc_lo, v36, v28
	s_wait_alu 0xfffd
	v_add_co_ci_u32_e32 v29, vcc_lo, v37, v29, vcc_lo
	s_delay_alu instid0(VALU_DEP_3) | instskip(SKIP_3) | instid1(VALU_DEP_3)
	v_lshlrev_b64_e32 v[34:35], 4, v[158:159]
	v_add_co_u32 v32, vcc_lo, v36, v32
	s_wait_alu 0xfffd
	v_add_co_ci_u32_e32 v33, vcc_lo, v37, v33, vcc_lo
	v_add_co_u32 v34, vcc_lo, v36, v34
	s_wait_alu 0xfffd
	v_add_co_ci_u32_e32 v35, vcc_lo, v37, v35, vcc_lo
	s_wait_dscnt 0x4
	global_store_b128 v[24:25], v[0:3], off
	s_wait_dscnt 0x3
	global_store_b128 v[26:27], v[4:7], off
	;; [unrolled: 2-line block ×4, first 2 shown]
	s_wait_dscnt 0x0
	s_clause 0x1
	global_store_b128 v[32:33], v[20:23], off
	global_store_b128 v[34:35], v[16:19], off
.LBB0_21:
	s_nop 0
	s_sendmsg sendmsg(MSG_DEALLOC_VGPRS)
	s_endpgm
	.section	.rodata,"a",@progbits
	.p2align	6, 0x0
	.amdhsa_kernel fft_rtc_fwd_len2700_factors_3_10_10_3_3_wgs_90_tpt_90_halfLds_dp_op_CI_CI_unitstride_sbrr_C2R_dirReg
		.amdhsa_group_segment_fixed_size 0
		.amdhsa_private_segment_fixed_size 12
		.amdhsa_kernarg_size 104
		.amdhsa_user_sgpr_count 2
		.amdhsa_user_sgpr_dispatch_ptr 0
		.amdhsa_user_sgpr_queue_ptr 0
		.amdhsa_user_sgpr_kernarg_segment_ptr 1
		.amdhsa_user_sgpr_dispatch_id 0
		.amdhsa_user_sgpr_private_segment_size 0
		.amdhsa_wavefront_size32 1
		.amdhsa_uses_dynamic_stack 0
		.amdhsa_enable_private_segment 1
		.amdhsa_system_sgpr_workgroup_id_x 1
		.amdhsa_system_sgpr_workgroup_id_y 0
		.amdhsa_system_sgpr_workgroup_id_z 0
		.amdhsa_system_sgpr_workgroup_info 0
		.amdhsa_system_vgpr_workitem_id 0
		.amdhsa_next_free_vgpr 256
		.amdhsa_next_free_sgpr 39
		.amdhsa_reserve_vcc 1
		.amdhsa_float_round_mode_32 0
		.amdhsa_float_round_mode_16_64 0
		.amdhsa_float_denorm_mode_32 3
		.amdhsa_float_denorm_mode_16_64 3
		.amdhsa_fp16_overflow 0
		.amdhsa_workgroup_processor_mode 1
		.amdhsa_memory_ordered 1
		.amdhsa_forward_progress 0
		.amdhsa_round_robin_scheduling 0
		.amdhsa_exception_fp_ieee_invalid_op 0
		.amdhsa_exception_fp_denorm_src 0
		.amdhsa_exception_fp_ieee_div_zero 0
		.amdhsa_exception_fp_ieee_overflow 0
		.amdhsa_exception_fp_ieee_underflow 0
		.amdhsa_exception_fp_ieee_inexact 0
		.amdhsa_exception_int_div_zero 0
	.end_amdhsa_kernel
	.text
.Lfunc_end0:
	.size	fft_rtc_fwd_len2700_factors_3_10_10_3_3_wgs_90_tpt_90_halfLds_dp_op_CI_CI_unitstride_sbrr_C2R_dirReg, .Lfunc_end0-fft_rtc_fwd_len2700_factors_3_10_10_3_3_wgs_90_tpt_90_halfLds_dp_op_CI_CI_unitstride_sbrr_C2R_dirReg
                                        ; -- End function
	.section	.AMDGPU.csdata,"",@progbits
; Kernel info:
; codeLenInByte = 23380
; NumSgprs: 41
; NumVgprs: 256
; ScratchSize: 12
; MemoryBound: 0
; FloatMode: 240
; IeeeMode: 1
; LDSByteSize: 0 bytes/workgroup (compile time only)
; SGPRBlocks: 5
; VGPRBlocks: 31
; NumSGPRsForWavesPerEU: 41
; NumVGPRsForWavesPerEU: 256
; Occupancy: 5
; WaveLimiterHint : 1
; COMPUTE_PGM_RSRC2:SCRATCH_EN: 1
; COMPUTE_PGM_RSRC2:USER_SGPR: 2
; COMPUTE_PGM_RSRC2:TRAP_HANDLER: 0
; COMPUTE_PGM_RSRC2:TGID_X_EN: 1
; COMPUTE_PGM_RSRC2:TGID_Y_EN: 0
; COMPUTE_PGM_RSRC2:TGID_Z_EN: 0
; COMPUTE_PGM_RSRC2:TIDIG_COMP_CNT: 0
	.text
	.p2alignl 7, 3214868480
	.fill 96, 4, 3214868480
	.type	__hip_cuid_8b58f96e2449b0f,@object ; @__hip_cuid_8b58f96e2449b0f
	.section	.bss,"aw",@nobits
	.globl	__hip_cuid_8b58f96e2449b0f
__hip_cuid_8b58f96e2449b0f:
	.byte	0                               ; 0x0
	.size	__hip_cuid_8b58f96e2449b0f, 1

	.ident	"AMD clang version 19.0.0git (https://github.com/RadeonOpenCompute/llvm-project roc-6.4.0 25133 c7fe45cf4b819c5991fe208aaa96edf142730f1d)"
	.section	".note.GNU-stack","",@progbits
	.addrsig
	.addrsig_sym __hip_cuid_8b58f96e2449b0f
	.amdgpu_metadata
---
amdhsa.kernels:
  - .args:
      - .actual_access:  read_only
        .address_space:  global
        .offset:         0
        .size:           8
        .value_kind:     global_buffer
      - .offset:         8
        .size:           8
        .value_kind:     by_value
      - .actual_access:  read_only
        .address_space:  global
        .offset:         16
        .size:           8
        .value_kind:     global_buffer
      - .actual_access:  read_only
        .address_space:  global
        .offset:         24
        .size:           8
        .value_kind:     global_buffer
      - .actual_access:  read_only
        .address_space:  global
        .offset:         32
        .size:           8
        .value_kind:     global_buffer
      - .offset:         40
        .size:           8
        .value_kind:     by_value
      - .actual_access:  read_only
        .address_space:  global
        .offset:         48
        .size:           8
        .value_kind:     global_buffer
      - .actual_access:  read_only
        .address_space:  global
        .offset:         56
        .size:           8
        .value_kind:     global_buffer
      - .offset:         64
        .size:           4
        .value_kind:     by_value
      - .actual_access:  read_only
        .address_space:  global
        .offset:         72
        .size:           8
        .value_kind:     global_buffer
      - .actual_access:  read_only
        .address_space:  global
        .offset:         80
        .size:           8
        .value_kind:     global_buffer
      - .actual_access:  read_only
        .address_space:  global
        .offset:         88
        .size:           8
        .value_kind:     global_buffer
      - .actual_access:  write_only
        .address_space:  global
        .offset:         96
        .size:           8
        .value_kind:     global_buffer
    .group_segment_fixed_size: 0
    .kernarg_segment_align: 8
    .kernarg_segment_size: 104
    .language:       OpenCL C
    .language_version:
      - 2
      - 0
    .max_flat_workgroup_size: 90
    .name:           fft_rtc_fwd_len2700_factors_3_10_10_3_3_wgs_90_tpt_90_halfLds_dp_op_CI_CI_unitstride_sbrr_C2R_dirReg
    .private_segment_fixed_size: 12
    .sgpr_count:     41
    .sgpr_spill_count: 0
    .symbol:         fft_rtc_fwd_len2700_factors_3_10_10_3_3_wgs_90_tpt_90_halfLds_dp_op_CI_CI_unitstride_sbrr_C2R_dirReg.kd
    .uniform_work_group_size: 1
    .uses_dynamic_stack: false
    .vgpr_count:     256
    .vgpr_spill_count: 2
    .wavefront_size: 32
    .workgroup_processor_mode: 1
amdhsa.target:   amdgcn-amd-amdhsa--gfx1201
amdhsa.version:
  - 1
  - 2
...

	.end_amdgpu_metadata
